;; amdgpu-corpus repo=zjin-lcf/HeCBench kind=compiled arch=gfx906 opt=O3
	.amdgcn_target "amdgcn-amd-amdhsa--gfx906"
	.amdhsa_code_object_version 6
	.text
	.protected	_Z9secp256k1PK20secp256k1_ge_storagePh ; -- Begin function _Z9secp256k1PK20secp256k1_ge_storagePh
	.globl	_Z9secp256k1PK20secp256k1_ge_storagePh
	.p2align	8
	.type	_Z9secp256k1PK20secp256k1_ge_storagePh,@function
_Z9secp256k1PK20secp256k1_ge_storagePh: ; @_Z9secp256k1PK20secp256k1_ge_storagePh
; %bb.0:
	s_load_dwordx4 s[16:19], s[4:5], 0x0
                                        ; implicit-def: $vgpr15 : SGPR spill to VGPR lane
	s_mov_b32 s25, 0
	s_mov_b32 s49, 1
	;; [unrolled: 1-line block ×3, first 2 shown]
	s_mov_b64 s[94:95], 0
	s_waitcnt lgkmcnt(0)
	v_writelane_b32 v15, s16, 0
	s_load_dwordx16 s[0:15], s[16:17], 0x0
	v_writelane_b32 v15, s17, 1
	v_writelane_b32 v15, s18, 2
	s_mov_b32 s83, s25
	s_mov_b32 s84, s25
	s_waitcnt lgkmcnt(0)
	v_mov_b32_e32 v0, s0
	v_alignbit_b32 v0, s1, v0, 26
	s_and_b32 s41, s0, 0x3ffffff
	v_readfirstlane_b32 s0, v0
	v_mov_b32_e32 v0, s3
	v_alignbit_b32 v0, s4, v0, 8
	s_and_b32 s62, s0, 0x3ffffff
	v_readfirstlane_b32 s0, v0
	;; [unrolled: 4-line block ×7, first 2 shown]
	v_mov_b32_e32 v0, s10
	v_alignbit_b32 v0, s11, v0, 14
	s_and_b32 vcc_hi, s0, 0x3ffffff
	v_readfirstlane_b32 s0, v0
	v_mov_b32_e32 v0, s11
	v_alignbit_b32 v0, s12, v0, 8
	s_and_b32 s38, s0, 0x3ffffff
	v_readfirstlane_b32 s0, v0
	v_mov_b32_e32 v0, s12
	v_alignbit_b32 v0, s13, v0, 28
	s_and_b32 s39, s0, 0x3ffffff
	v_readfirstlane_b32 s0, v0
	v_mov_b32_e32 v0, s13
	v_alignbit_b32 v0, s14, v0, 22
	v_mov_b32_e32 v1, s1
	v_mov_b32_e32 v2, s2
	s_and_b32 vcc_lo, s0, 0x3ffffff
	v_readfirstlane_b32 s0, v0
	v_mov_b32_e32 v0, s14
	v_alignbit_b32 v1, s2, v1, 20
	v_alignbit_b32 v2, s3, v2, 14
	;; [unrolled: 1-line block ×3, first 2 shown]
	v_readfirstlane_b32 s1, v1
	v_readfirstlane_b32 s2, v2
	s_and_b32 s64, s0, 0x3ffffff
	v_readfirstlane_b32 s0, v0
	s_and_b32 s65, s1, 0x3ffffff
	s_and_b32 s53, s2, 0x3ffffff
	s_bfe_u32 s55, s4, 0x1a0002
	s_lshr_b32 s68, s7, 10
	s_and_b32 s34, s8, 0x3ffffff
	s_bfe_u32 s44, s12, 0x1a0002
	s_and_b32 s93, s0, 0x3ffffff
	s_lshr_b32 s75, s15, 10
	s_mov_b64 s[4:5], 0
	s_mov_b32 s82, s25
	s_mov_b32 s46, s25
	;; [unrolled: 1-line block ×4, first 2 shown]
	s_mov_b64 s[70:71], 0
	s_mov_b32 s63, 1
	s_mov_b32 s42, 0
	s_mov_b32 s43, 0
	s_mov_b32 s35, 0
	s_mov_b32 s36, 0
	s_mov_b32 s37, 0
	s_mov_b32 s50, 0
	s_mov_b32 s51, 0
	s_mov_b32 s40, 0
	s_mov_b64 s[28:29], 0
	v_writelane_b32 v15, s19, 3
.LBB0_1:                                ; =>This Inner Loop Header: Depth=1
	v_writelane_b32 v15, s82, 20
	v_writelane_b32 v15, s84, 21
	;; [unrolled: 1-line block ×10, first 2 shown]
	v_readlane_b32 s0, v15, 0
	v_readlane_b32 s1, v15, 1
	s_add_u32 s30, s0, s4
	v_readlane_b32 s2, v15, 2
	v_readlane_b32 s3, v15, 3
	s_addc_u32 s31, s1, s5
	s_load_dwordx16 s[0:15], s[30:31], 0x40
	s_lshl_b32 s16, s63, 1
	s_lshl_b32 s80, s35, 1
	;; [unrolled: 1-line block ×3, first 2 shown]
	s_mul_i32 s21, s29, s16
	s_waitcnt lgkmcnt(0)
	v_mov_b32_e32 v0, s0
	v_mov_b32_e32 v1, s1
	;; [unrolled: 1-line block ×14, first 2 shown]
	v_alignbit_b32 v0, s1, v0, 26
	v_alignbit_b32 v1, s2, v1, 20
	;; [unrolled: 1-line block ×14, first 2 shown]
	s_mul_hi_u32 s22, s28, s16
	s_bfe_u32 s85, s4, 0x1a0002
	s_lshr_b32 s18, s7, 10
	s_and_b32 s19, s8, 0x3ffffff
	s_bfe_u32 s58, s12, 0x1a0002
	s_lshr_b32 s59, s15, 10
	v_readfirstlane_b32 s2, v0
	v_readfirstlane_b32 s3, v1
	;; [unrolled: 1-line block ×14, first 2 shown]
	s_lshl_b32 s17, s42, 1
	s_lshl_b32 s79, s43, 1
	s_mul_i32 s27, s80, s50
	s_mul_i32 s31, s66, s37
	s_and_b32 s86, s0, 0x3ffffff
	s_add_i32 s22, s22, s21
	s_and_b32 s92, s2, 0x3ffffff
	s_and_b32 s91, s3, 0x3ffffff
	;; [unrolled: 1-line block ×3, first 2 shown]
	s_mov_b64 s[48:49], s[70:71]
	s_and_b32 s89, s5, 0x3ffffff
	s_and_b32 s88, s6, 0x3ffffff
	s_and_b32 s87, s7, 0x3ffffff
	s_and_b32 s30, s8, 0x3ffffff
	s_and_b32 s70, s9, 0x3ffffff
	s_and_b32 s72, s10, 0x3ffffff
	s_and_b32 s73, s11, 0x3ffffff
	s_and_b32 s74, s12, 0x3ffffff
	s_and_b32 s60, s13, 0x3ffffff
	s_and_b32 s69, s14, 0x3ffffff
	s_and_b32 s71, s15, 0x3ffffff
	s_mul_hi_u32 s26, s80, s50
	s_mul_hi_u32 s77, s66, s37
	s_add_u32 s2, s27, s31
	s_mul_i32 s78, s79, s51
	s_addc_u32 s4, s26, s77
	s_mul_hi_u32 s0, s79, s51
	s_add_u32 s2, s2, s78
	s_mul_i32 s1, s17, s40
	s_addc_u32 s0, s4, s0
	;; [unrolled: 4-line block ×3, first 2 shown]
	s_add_u32 s0, s1, s23
	s_mul_i32 s5, s29, s17
	s_mul_hi_u32 s6, s28, s17
	s_addc_u32 s1, s3, s22
	s_mul_i32 s61, s37, s37
	s_mul_i32 s4, s66, s50
	s_add_i32 s6, s6, s5
	s_and_b32 s9, s0, 0x3ffffff
	s_lshr_b64 s[0:1], s[0:1], 26
	s_mul_hi_u32 s24, s37, s37
	s_mul_hi_u32 s2, s66, s50
	s_add_u32 s4, s4, s61
	s_mul_i32 s7, s80, s51
	s_addc_u32 s2, s2, s24
	s_mul_hi_u32 s3, s80, s51
	s_add_u32 s4, s4, s7
	s_mul_i32 s8, s79, s40
	s_addc_u32 s2, s2, s3
	;; [unrolled: 4-line block ×3, first 2 shown]
	s_add_u32 s3, s3, s10
	s_addc_u32 s2, s2, s6
	s_add_u32 s0, s3, s0
	s_addc_u32 s1, s2, s1
	s_and_b32 s24, s0, 0x3ffffff
	s_mul_i32 s20, s63, s63
	s_lshr_b64 s[0:1], s[0:1], 26
	s_mul_i32 s2, s24, 0x3d10
	s_mul_hi_u32 s57, s63, s63
	s_mul_hi_u32 s3, s24, 0x3d10
	s_add_u32 s2, s2, s20
	s_mul_i32 s7, s29, s79
	s_mul_hi_u32 s11, s28, s79
	s_addc_u32 s3, s3, s57
	s_lshl_b32 s4, s37, 1
	s_mul_i32 s12, s66, s51
	s_add_i32 s11, s11, s7
	s_and_b32 s8, s2, 0x3fffffd
	s_lshl_b64 s[6:7], s[24:25], 10
	s_lshr_b64 s[2:3], s[2:3], 26
	s_mul_i32 s10, s4, s50
	s_mul_hi_u32 s5, s66, s51
	s_add_u32 s10, s12, s10
	s_mul_hi_u32 s12, s4, s50
	s_addc_u32 s5, s5, s12
	s_mul_i32 s12, s80, s40
	s_add_u32 s10, s10, s12
	s_mul_hi_u32 s12, s80, s40
	s_addc_u32 s5, s5, s12
	s_mul_i32 s12, s28, s79
	s_add_u32 s10, s10, s12
	s_addc_u32 s5, s5, s11
	s_add_u32 s0, s10, s0
	s_addc_u32 s1, s5, s1
	s_mul_i32 s5, s16, s42
	s_and_b32 s24, s0, 0x3ffffff
	s_lshr_b64 s[0:1], s[0:1], 26
	s_mul_hi_u32 s10, s16, s42
	s_add_u32 s5, s6, s5
	s_addc_u32 s6, s7, s10
	s_add_u32 s2, s5, s2
	s_addc_u32 s3, s6, s3
	s_mul_i32 s5, s24, 0x3d10
	s_mul_hi_u32 s6, s24, 0x3d10
	s_add_u32 s2, s2, s5
	s_mul_i32 s11, s29, s80
	s_mul_hi_u32 s7, s28, s80
	s_addc_u32 s3, s3, s6
	s_mul_i32 s67, s50, s50
	s_mul_i32 s13, s4, s51
	s_add_i32 s5, s7, s11
	s_and_b32 s10, s2, 0x3ffffff
	s_lshl_b64 s[6:7], s[24:25], 10
	s_lshr_b64 s[2:3], s[2:3], 26
	s_mul_hi_u32 s76, s50, s50
	s_add_u32 s11, s13, s67
	s_mul_hi_u32 s13, s4, s51
	s_addc_u32 s13, s13, s76
	s_mul_i32 s14, s66, s40
	s_add_u32 s11, s11, s14
	s_mul_hi_u32 s14, s66, s40
	s_addc_u32 s13, s13, s14
	s_mul_i32 s14, s28, s80
	s_add_u32 s11, s11, s14
	s_addc_u32 s5, s13, s5
	s_add_u32 s0, s11, s0
	s_addc_u32 s1, s5, s1
	s_mul_i32 s12, s42, s42
	s_mul_i32 s5, s16, s43
	s_and_b32 s24, s0, 0x3ffffff
	s_lshr_b64 s[0:1], s[0:1], 26
	s_mul_hi_u32 s14, s42, s42
	s_mul_hi_u32 s11, s16, s43
	s_add_u32 s5, s5, s12
	s_addc_u32 s11, s11, s14
	s_add_u32 s5, s5, s6
	s_addc_u32 s6, s11, s7
	s_mul_i32 s7, s24, 0x3d10
	s_mul_hi_u32 s11, s24, 0x3d10
	s_add_u32 s5, s5, s7
	s_addc_u32 s6, s6, s11
	s_add_u32 s2, s5, s2
	s_mul_i32 s13, s29, s66
	s_mul_hi_u32 s12, s28, s66
	s_addc_u32 s3, s6, s3
	s_lshl_b32 s5, s50, 1
	s_mul_i32 s14, s4, s40
	s_add_i32 s12, s12, s13
	s_and_b32 s11, s2, 0x3ffffff
	s_lshl_b64 s[6:7], s[24:25], 10
	s_lshr_b64 s[2:3], s[2:3], 26
	s_mul_i32 s13, s5, s51
	s_add_u32 s13, s14, s13
	s_mul_hi_u32 s14, s4, s40
	s_mul_hi_u32 s15, s5, s51
	s_addc_u32 s14, s14, s15
	s_mul_i32 s15, s28, s66
	s_add_u32 s13, s13, s15
	s_addc_u32 s12, s14, s12
	s_add_u32 s0, s13, s0
	s_addc_u32 s1, s12, s1
	s_mul_i32 s12, s16, s35
	s_mul_i32 s13, s17, s43
	s_and_b32 s24, s0, 0x3ffffff
	s_lshr_b64 s[0:1], s[0:1], 26
	s_mul_hi_u32 s14, s16, s35
	s_add_u32 s12, s12, s13
	s_mul_hi_u32 s13, s17, s43
	s_addc_u32 s13, s14, s13
	s_add_u32 s6, s12, s6
	s_addc_u32 s7, s13, s7
	s_mul_i32 s13, s24, 0x3d10
	s_add_u32 s6, s6, s13
	s_mul_hi_u32 s13, s24, 0x3d10
	s_addc_u32 s7, s7, s13
	s_add_u32 s2, s6, s2
	s_mul_i32 s14, s29, s4
	s_mul_hi_u32 s12, s28, s4
	s_addc_u32 s3, s7, s3
	s_mul_i32 s15, s51, s51
	s_mul_i32 s13, s5, s40
	s_add_i32 s12, s12, s14
	s_and_b32 s76, s2, 0x3ffffff
	s_lshl_b64 s[6:7], s[24:25], 10
	s_lshr_b64 s[2:3], s[2:3], 26
	s_add_u32 s13, s13, s15
	s_mul_hi_u32 s14, s51, s51
	s_mul_hi_u32 s15, s5, s40
	s_addc_u32 s14, s15, s14
	s_mul_i32 s4, s28, s4
	s_add_u32 s4, s13, s4
	s_addc_u32 s12, s14, s12
	s_add_u32 s0, s4, s0
	s_addc_u32 s1, s12, s1
	s_mul_i32 s13, s43, s43
	s_mul_i32 s12, s17, s35
	s_and_b32 s24, s0, 0x3ffffff
	s_lshr_b64 s[0:1], s[0:1], 26
	s_mul_hi_u32 s4, s43, s43
	s_mul_hi_u32 s14, s17, s35
	s_add_u32 s12, s12, s13
	s_mul_i32 s13, s16, s36
	s_addc_u32 s4, s14, s4
	s_mul_hi_u32 s14, s16, s36
	s_add_u32 s12, s12, s13
	s_addc_u32 s4, s4, s14
	s_mul_i32 s13, s29, s5
	s_mul_hi_u32 s14, s28, s5
	s_mul_i32 s15, s28, s5
	s_add_u32 s5, s12, s6
	s_addc_u32 s4, s4, s7
	s_mul_i32 s6, s24, 0x3d10
	s_mul_hi_u32 s7, s24, 0x3d10
	s_add_u32 s5, s5, s6
	s_addc_u32 s4, s4, s7
	s_add_u32 s2, s5, s2
	s_addc_u32 s3, s4, s3
	s_lshl_b32 s6, s51, 1
	s_add_i32 s14, s14, s13
	s_and_b32 s77, s2, 0x3ffffff
	s_lshl_b64 s[4:5], s[24:25], 10
	s_lshr_b64 s[2:3], s[2:3], 26
	s_mul_i32 s7, s6, s40
	s_add_u32 s7, s15, s7
	s_mul_hi_u32 s12, s6, s40
	s_addc_u32 s12, s14, s12
	s_add_u32 s0, s7, s0
	s_addc_u32 s1, s12, s1
	s_mul_i32 s7, s17, s36
	s_mul_i32 s12, s79, s35
	s_and_b32 s24, s0, 0x3ffffff
	s_lshr_b64 s[0:1], s[0:1], 26
	s_mul_hi_u32 s13, s17, s36
	s_add_u32 s7, s7, s12
	s_mul_hi_u32 s12, s79, s35
	s_addc_u32 s12, s13, s12
	s_mul_i32 s13, s16, s37
	s_add_u32 s7, s7, s13
	s_mul_hi_u32 s13, s16, s37
	s_addc_u32 s12, s12, s13
	s_add_u32 s4, s7, s4
	s_addc_u32 s5, s12, s5
	s_mul_i32 s12, s24, 0x3d10
	s_add_u32 s4, s4, s12
	s_mul_hi_u32 s12, s24, 0x3d10
	s_addc_u32 s5, s5, s12
	s_add_u32 s2, s4, s2
	s_mul_i32 s7, s29, s6
	s_addc_u32 s3, s5, s3
	s_mul_hi_u32 s4, s28, s6
	s_mul_i32 s13, s40, s40
	s_mul_i32 s6, s28, s6
	s_add_i32 s7, s4, s7
	s_and_b32 s61, s2, 0x3ffffff
	s_lshl_b64 s[4:5], s[24:25], 10
	s_lshr_b64 s[2:3], s[2:3], 26
	s_add_u32 s6, s6, s13
	s_mul_hi_u32 s12, s40, s40
	s_addc_u32 s7, s7, s12
	s_add_u32 s0, s6, s0
	s_addc_u32 s1, s7, s1
	s_mul_i32 s6, s35, s35
	s_mul_i32 s12, s79, s36
	s_and_b32 s24, s0, 0x3ffffff
	s_lshr_b64 s[0:1], s[0:1], 26
	s_mul_hi_u32 s7, s35, s35
	s_add_u32 s6, s12, s6
	s_mul_hi_u32 s12, s79, s36
	s_addc_u32 s7, s12, s7
	s_mul_i32 s12, s17, s37
	s_add_u32 s6, s6, s12
	s_mul_hi_u32 s12, s17, s37
	s_addc_u32 s7, s7, s12
	s_mul_i32 s12, s16, s50
	s_add_u32 s6, s6, s12
	s_mul_hi_u32 s12, s16, s50
	s_addc_u32 s7, s7, s12
	s_add_u32 s4, s6, s4
	s_mul_i32 s12, s24, 0x3d10
	s_addc_u32 s5, s7, s5
	s_mul_hi_u32 s6, s24, 0x3d10
	s_add_u32 s4, s4, s12
	s_addc_u32 s5, s5, s6
	s_add_u32 s2, s4, s2
	s_addc_u32 s3, s5, s3
	s_lshl_b32 s6, s40, 1
	s_mul_i32 s4, s29, s6
	s_mul_hi_u32 s5, s28, s6
	s_and_b32 s66, s2, 0x3ffffff
	s_add_i32 s7, s5, s4
	s_lshl_b64 s[4:5], s[24:25], 10
	s_lshr_b64 s[2:3], s[2:3], 26
	s_mul_i32 s6, s28, s6
	s_add_u32 s0, s0, s6
	s_addc_u32 s1, s1, s7
	s_mul_i32 s6, s79, s37
	s_mul_i32 s7, s80, s36
	s_and_b32 s24, s0, 0x3ffffff
	s_lshr_b64 s[0:1], s[0:1], 26
	s_add_u32 s6, s6, s7
	s_mul_hi_u32 s7, s79, s37
	s_mul_hi_u32 s12, s80, s36
	s_addc_u32 s7, s7, s12
	s_mul_i32 s12, s17, s50
	s_add_u32 s6, s6, s12
	s_mul_hi_u32 s12, s17, s50
	s_addc_u32 s7, s7, s12
	s_mul_i32 s12, s16, s51
	s_add_u32 s6, s6, s12
	s_mul_hi_u32 s12, s16, s51
	s_addc_u32 s7, s7, s12
	s_add_u32 s4, s6, s4
	s_addc_u32 s5, s7, s5
	s_mul_i32 s7, s24, 0x3d10
	s_add_u32 s4, s4, s7
	s_mul_hi_u32 s7, s24, 0x3d10
	s_addc_u32 s5, s5, s7
	s_mul_i32 s6, s28, s29
	s_add_u32 s2, s4, s2
	s_mul_hi_u32 s4, s28, s28
	s_addc_u32 s3, s5, s3
	s_add_i32 s4, s4, s6
	s_mul_i32 s12, s28, s28
	s_and_b32 s78, s2, 0x3ffffff
	s_add_i32 s13, s4, s6
	s_lshr_b64 s[4:5], s[2:3], 26
	s_lshl_b64 s[6:7], s[24:25], 10
	s_add_u32 s2, s0, s12
	s_addc_u32 s3, s1, s13
	s_mul_i32 s12, s36, s36
	s_and_b32 s24, s2, 0x3ffffff
	s_mul_i32 s13, s80, s37
	s_lshr_b64 s[0:1], s[2:3], 26
	s_add_u32 s2, s13, s12
	s_mul_hi_u32 s12, s80, s37
	s_mul_hi_u32 s13, s36, s36
	s_addc_u32 s12, s12, s13
	s_mul_i32 s13, s79, s50
	s_add_u32 s2, s2, s13
	s_mul_hi_u32 s13, s79, s50
	s_addc_u32 s12, s12, s13
	s_mul_i32 s13, s17, s51
	s_add_u32 s2, s2, s13
	;; [unrolled: 4-line block ×3, first 2 shown]
	s_mul_hi_u32 s13, s16, s40
	s_addc_u32 s12, s12, s13
	s_add_u32 s2, s2, s6
	s_addc_u32 s6, s12, s7
	s_mul_i32 s7, s24, 0x3d10
	s_add_u32 s2, s2, s7
	s_mul_hi_u32 s7, s24, 0x3d10
	s_addc_u32 s6, s6, s7
	s_add_u32 s4, s2, s4
	s_addc_u32 s5, s6, s5
	s_lshr_b32 s3, s3, 26
	s_mul_hi_u32 s2, s0, 0x3d10
	s_mulk_i32 s3, 0x3d10
	s_mul_i32 s12, s0, 0x3d10
	s_and_b32 s79, s4, 0x3ffffff
	s_add_i32 s3, s2, s3
	s_lshl_b64 s[6:7], s[24:25], 10
	s_lshr_b64 s[4:5], s[4:5], 26
	s_add_u32 s9, s12, s9
	s_addc_u32 s3, s3, 0
	s_add_u32 s6, s9, s6
	s_addc_u32 s3, s3, s7
	;; [unrolled: 2-line block ×3, first 2 shown]
	s_lshl_b64 s[0:1], s[0:1], 14
	s_and_b32 s83, s4, 0x3fffff
	s_lshr_b64 s[4:5], s[4:5], 22
	s_add_u32 s0, s4, s0
	s_addc_u32 s1, s5, s1
	s_mul_hi_u32 s4, s0, 0x3d1
	s_mul_i32 s5, s1, 0x3d1
	s_add_i32 s5, s4, s5
	s_mul_i32 s4, s0, 0x3d1
	s_add_u32 s4, s4, s8
	s_addc_u32 s5, s5, 0
	s_lshl_b64 s[0:1], s[0:1], 6
	s_and_b32 s80, s4, 0x3ffffff
	s_lshr_b64 s[4:5], s[4:5], 26
	s_add_u32 s0, s0, s10
	s_addc_u32 s1, s1, 0
	s_add_u32 s0, s0, s4
	s_addc_u32 s1, s1, s5
	s_and_b32 s81, s0, 0x3ffffff
	s_lshr_b64 s[0:1], s[0:1], 26
	s_add_u32 s82, s0, s11
	s_addc_u32 s84, s1, 0
	s_lshr_b32 s0, s68, 22
	s_mul_i32 s5, s0, 0x3d1
	s_add_i32 s5, s41, s5
	s_mul_hi_u32 s8, s82, s87
	s_lshl_b32 s0, s0, 6
	s_mul_i32 s9, s84, s87
	s_add_i32 s0, s62, s0
	s_add_i32 s20, s8, s9
	s_lshr_b32 s8, s5, 26
	s_add_i32 s0, s0, s8
	s_lshr_b32 s8, s0, 26
	;; [unrolled: 2-line block ×8, first 2 shown]
	s_add_i32 s24, s8, s56
	s_and_b32 s1, s68, 0x3fffff
	s_lshr_b32 s52, s24, 26
	s_mul_i32 s6, s79, s92
	s_add_i32 s52, s52, s1
	s_mul_i32 s1, s83, s86
	s_and_b32 s8, s5, 0x3ffffff
	s_and_b32 s10, s0, 0x3ffffff
	;; [unrolled: 1-line block ×9, first 2 shown]
	s_mul_hi_u32 s4, s79, s92
	s_add_u32 s0, s6, s1
	s_mul_hi_u32 s1, s83, s86
	s_addc_u32 s1, s4, s1
	s_mul_i32 s4, s78, s91
	s_add_u32 s0, s0, s4
	s_mul_hi_u32 s4, s78, s91
	s_addc_u32 s1, s1, s4
	s_mul_i32 s4, s66, s90
	s_add_u32 s0, s0, s4
	s_mul_hi_u32 s4, s66, s90
	s_mul_i32 s3, s77, s85
	s_addc_u32 s1, s1, s4
	s_mul_hi_u32 s4, s77, s85
	s_add_u32 s0, s0, s3
	s_mul_i32 s3, s61, s89
	s_addc_u32 s1, s1, s4
	s_mul_hi_u32 s4, s61, s89
	s_add_u32 s0, s0, s3
	;; [unrolled: 4-line block ×3, first 2 shown]
	s_addc_u32 s1, s1, s17
	s_mul_i32 s6, s80, s18
	s_add_u32 s0, s0, s6
	s_mul_hi_u32 s6, s80, s18
	s_addc_u32 s1, s1, s6
	s_mul_i32 s6, s82, s87
	s_add_u32 s0, s0, s6
	s_mul_i32 s6, s81, s30
	s_addc_u32 s1, s1, s20
	s_mul_hi_u32 s16, s81, s30
	s_add_u32 s0, s0, s6
	s_addc_u32 s1, s1, s16
	s_mul_hi_u32 s6, s82, s30
	s_mul_i32 s16, s84, s30
	s_mul_i32 s3, s79, s91
	;; [unrolled: 1-line block ×3, first 2 shown]
	s_add_i32 s6, s6, s16
	s_and_b32 s54, s0, 0x3ffffff
	s_lshr_b64 s[0:1], s[0:1], 26
	s_mul_hi_u32 s4, s79, s91
	s_add_u32 s3, s3, s5
	s_mul_hi_u32 s5, s83, s92
	s_addc_u32 s4, s4, s5
	s_mul_i32 s5, s78, s90
	s_add_u32 s3, s3, s5
	s_mul_hi_u32 s5, s78, s90
	s_addc_u32 s4, s4, s5
	s_mul_i32 s5, s61, s85
	;; [unrolled: 4-line block ×4, first 2 shown]
	s_add_u32 s3, s3, s5
	s_mul_hi_u32 s5, s77, s88
	s_mul_i32 s2, s76, s87
	s_addc_u32 s4, s4, s5
	s_mul_hi_u32 s7, s76, s87
	s_add_u32 s2, s3, s2
	s_addc_u32 s3, s4, s7
	s_mul_i32 s4, s81, s18
	s_add_u32 s2, s2, s4
	s_mul_hi_u32 s4, s81, s18
	s_addc_u32 s3, s3, s4
	s_mul_i32 s4, s82, s30
	s_add_u32 s2, s2, s4
	s_addc_u32 s3, s3, s6
	s_add_u32 s0, s2, s0
	s_addc_u32 s1, s3, s1
	s_and_b32 s24, s0, 0x3ffffff
	s_mul_i32 s4, s80, s86
	s_lshr_b64 s[0:1], s[0:1], 26
	s_mul_i32 s2, s24, 0x3d10
	s_mul_hi_u32 s3, s80, s86
	s_mul_hi_u32 s5, s24, 0x3d10
	s_add_u32 s2, s2, s4
	s_addc_u32 s3, s5, s3
	s_mul_hi_u32 s4, s82, s18
	s_mul_i32 s5, s84, s18
	s_mul_i32 s16, s79, s90
	;; [unrolled: 1-line block ×3, first 2 shown]
	s_add_i32 s6, s4, s5
	s_and_b32 s55, s2, 0x3ffffff
	s_lshr_b64 s[2:3], s[2:3], 26
	s_lshl_b64 s[4:5], s[24:25], 10
	s_add_u32 s7, s16, s17
	s_mul_hi_u32 s16, s79, s90
	s_mul_hi_u32 s17, s83, s91
	s_addc_u32 s16, s16, s17
	s_mul_i32 s17, s66, s85
	s_add_u32 s7, s7, s17
	s_mul_hi_u32 s17, s66, s85
	s_addc_u32 s16, s16, s17
	s_mul_i32 s17, s78, s89
	s_add_u32 s7, s7, s17
	;; [unrolled: 4-line block ×5, first 2 shown]
	s_addc_u32 s6, s16, s6
	s_mul_i32 s16, s76, s30
	s_add_u32 s7, s7, s16
	s_mul_hi_u32 s16, s76, s30
	s_addc_u32 s6, s6, s16
	s_add_u32 s0, s7, s0
	s_addc_u32 s1, s6, s1
	s_mul_i32 s6, s80, s92
	s_and_b32 s24, s0, 0x3ffffff
	s_lshr_b64 s[0:1], s[0:1], 26
	s_mul_i32 s7, s81, s86
	s_add_u32 s6, s6, s7
	s_mul_hi_u32 s7, s80, s92
	s_mul_hi_u32 s16, s81, s86
	s_addc_u32 s7, s7, s16
	s_add_u32 s4, s6, s4
	s_addc_u32 s5, s7, s5
	s_add_u32 s2, s4, s2
	s_addc_u32 s3, s5, s3
	s_mul_i32 s4, s24, 0x3d10
	s_mul_hi_u32 s5, s24, 0x3d10
	s_add_u32 s2, s2, s4
	s_addc_u32 s3, s3, s5
	s_mul_hi_u32 s4, s82, s86
	s_mul_i32 s5, s84, s86
	s_mul_i32 s6, s78, s85
	s_add_i32 s7, s4, s5
	s_and_b32 s56, s2, 0x3ffffff
	s_lshr_b64 s[2:3], s[2:3], 26
	s_mul_i32 s16, s83, s90
	s_lshl_b64 s[4:5], s[24:25], 10
	s_add_u32 s6, s6, s16
	s_mul_hi_u32 s16, s78, s85
	s_mul_hi_u32 s17, s83, s90
	s_addc_u32 s16, s16, s17
	s_mul_i32 s17, s79, s89
	s_add_u32 s6, s6, s17
	s_mul_hi_u32 s17, s79, s89
	s_addc_u32 s16, s16, s17
	s_mul_i32 s17, s66, s88
	s_add_u32 s6, s6, s17
	;; [unrolled: 4-line block ×5, first 2 shown]
	s_mul_hi_u32 s17, s77, s30
	s_addc_u32 s16, s16, s17
	s_add_u32 s0, s6, s0
	s_addc_u32 s1, s16, s1
	s_and_b32 s24, s0, 0x3ffffff
	s_lshr_b64 s[0:1], s[0:1], 26
	s_mul_i32 s6, s81, s92
	s_mul_i32 s16, s82, s86
	s_add_u32 s6, s6, s16
	s_mul_hi_u32 s16, s81, s92
	s_addc_u32 s7, s16, s7
	s_mul_i32 s16, s80, s91
	s_add_u32 s6, s6, s16
	s_mul_hi_u32 s16, s80, s91
	s_addc_u32 s7, s7, s16
	s_add_u32 s4, s6, s4
	s_addc_u32 s5, s7, s5
	s_mul_i32 s6, s24, 0x3d10
	s_add_u32 s4, s4, s6
	s_mul_hi_u32 s6, s24, 0x3d10
	s_addc_u32 s5, s5, s6
	s_add_u32 s2, s4, s2
	s_addc_u32 s3, s5, s3
	s_mul_hi_u32 s4, s82, s92
	s_mul_i32 s5, s84, s92
	s_add_i32 s6, s4, s5
	s_and_b32 s62, s2, 0x3ffffff
	s_lshr_b64 s[2:3], s[2:3], 26
	s_mul_i32 s7, s79, s85
	s_mul_i32 s16, s83, s89
	s_lshl_b64 s[4:5], s[24:25], 10
	s_add_u32 s7, s16, s7
	s_mul_hi_u32 s16, s79, s85
	s_mul_hi_u32 s17, s83, s89
	s_addc_u32 s16, s17, s16
	s_mul_i32 s17, s78, s88
	s_add_u32 s7, s7, s17
	s_mul_hi_u32 s17, s78, s88
	s_addc_u32 s16, s16, s17
	s_mul_i32 s17, s77, s18
	s_add_u32 s7, s7, s17
	s_mul_hi_u32 s17, s77, s18
	s_addc_u32 s16, s16, s17
	s_mul_i32 s17, s66, s87
	s_add_u32 s7, s7, s17
	s_mul_hi_u32 s17, s66, s87
	s_addc_u32 s16, s16, s17
	s_mul_i32 s17, s61, s30
	s_add_u32 s7, s7, s17
	s_mul_hi_u32 s17, s61, s30
	s_addc_u32 s16, s16, s17
	s_add_u32 s0, s7, s0
	s_addc_u32 s1, s16, s1
	s_and_b32 s24, s0, 0x3ffffff
	s_lshr_b64 s[0:1], s[0:1], 26
	s_mul_i32 s7, s76, s86
	s_mul_i32 s16, s82, s92
	s_add_u32 s7, s16, s7
	s_mul_hi_u32 s16, s76, s86
	s_addc_u32 s6, s6, s16
	s_mul_i32 s16, s81, s91
	s_add_u32 s7, s7, s16
	s_mul_hi_u32 s16, s81, s91
	s_addc_u32 s6, s6, s16
	;; [unrolled: 4-line block ×3, first 2 shown]
	s_add_u32 s4, s7, s4
	s_addc_u32 s5, s6, s5
	s_mul_i32 s6, s24, 0x3d10
	s_add_u32 s4, s4, s6
	s_mul_hi_u32 s6, s24, 0x3d10
	s_addc_u32 s5, s5, s6
	s_add_u32 s2, s4, s2
	s_addc_u32 s3, s5, s3
	s_mul_hi_u32 s4, s82, s91
	s_mul_i32 s5, s84, s91
	s_add_i32 s7, s4, s5
	s_and_b32 s6, s2, 0x3ffffff
	s_lshr_b64 s[2:3], s[2:3], 26
	s_mul_i32 s16, s79, s88
	s_mul_i32 s17, s83, s85
	s_lshl_b64 s[4:5], s[24:25], 10
	s_add_u32 s16, s16, s17
	s_mul_hi_u32 s17, s79, s88
	s_mul_hi_u32 s20, s83, s85
	s_addc_u32 s17, s17, s20
	s_mul_i32 s20, s61, s18
	s_add_u32 s16, s16, s20
	s_mul_hi_u32 s20, s61, s18
	s_addc_u32 s17, s17, s20
	s_mul_i32 s20, s78, s87
	s_add_u32 s16, s16, s20
	;; [unrolled: 4-line block ×3, first 2 shown]
	s_mul_hi_u32 s20, s66, s30
	s_addc_u32 s17, s17, s20
	s_add_u32 s0, s16, s0
	s_addc_u32 s1, s17, s1
	s_and_b32 s24, s0, 0x3ffffff
	s_lshr_b64 s[0:1], s[0:1], 26
	s_mul_i32 s16, s76, s92
	s_mul_i32 s17, s77, s86
	s_add_u32 s16, s16, s17
	s_mul_hi_u32 s17, s76, s92
	s_mul_hi_u32 s20, s77, s86
	s_addc_u32 s17, s17, s20
	s_mul_i32 s20, s82, s91
	s_add_u32 s16, s16, s20
	s_addc_u32 s7, s17, s7
	s_mul_i32 s17, s81, s90
	s_add_u32 s16, s16, s17
	s_mul_hi_u32 s17, s81, s90
	s_addc_u32 s7, s7, s17
	s_mul_i32 s17, s80, s89
	s_add_u32 s16, s16, s17
	s_mul_hi_u32 s17, s80, s89
	s_addc_u32 s7, s7, s17
	s_add_u32 s4, s16, s4
	s_addc_u32 s5, s7, s5
	s_mul_i32 s7, s24, 0x3d10
	s_add_u32 s4, s4, s7
	s_mul_hi_u32 s7, s24, 0x3d10
	s_addc_u32 s5, s5, s7
	s_add_u32 s2, s4, s2
	s_addc_u32 s3, s5, s3
	s_mul_hi_u32 s4, s82, s90
	s_mul_i32 s5, s84, s90
	s_add_i32 s16, s4, s5
	s_and_b32 s7, s2, 0x3ffffff
	s_lshr_b64 s[2:3], s[2:3], 26
	s_mul_i32 s17, s66, s18
	s_mul_i32 s20, s83, s88
	s_lshl_b64 s[4:5], s[24:25], 10
	s_add_u32 s17, s17, s20
	s_mul_hi_u32 s20, s66, s18
	s_mul_hi_u32 s21, s83, s88
	s_addc_u32 s20, s20, s21
	s_mul_i32 s21, s79, s87
	s_add_u32 s17, s17, s21
	s_mul_hi_u32 s21, s79, s87
	s_addc_u32 s20, s20, s21
	s_mul_i32 s21, s78, s30
	s_add_u32 s17, s17, s21
	s_mul_hi_u32 s21, s78, s30
	s_addc_u32 s20, s20, s21
	s_add_u32 s0, s17, s0
	s_addc_u32 s1, s20, s1
	s_and_b32 s24, s0, 0x3ffffff
	s_lshr_b64 s[0:1], s[0:1], 26
	s_mul_i32 s17, s77, s92
	s_mul_i32 s20, s61, s86
	s_add_u32 s17, s17, s20
	s_mul_hi_u32 s20, s77, s92
	s_mul_hi_u32 s21, s61, s86
	s_addc_u32 s20, s20, s21
	s_mul_i32 s21, s76, s91
	s_add_u32 s17, s17, s21
	s_mul_hi_u32 s21, s76, s91
	s_addc_u32 s20, s20, s21
	s_mul_i32 s21, s82, s90
	s_add_u32 s17, s17, s21
	s_addc_u32 s16, s20, s16
	s_mul_i32 s20, s80, s85
	s_add_u32 s17, s17, s20
	s_mul_hi_u32 s20, s80, s85
	s_addc_u32 s16, s16, s20
	s_mul_i32 s20, s81, s89
	s_add_u32 s17, s17, s20
	s_mul_hi_u32 s20, s81, s89
	s_addc_u32 s16, s16, s20
	s_add_u32 s4, s17, s4
	s_addc_u32 s5, s16, s5
	s_mul_i32 s16, s24, 0x3d10
	s_add_u32 s4, s4, s16
	s_mul_hi_u32 s16, s24, 0x3d10
	s_addc_u32 s5, s5, s16
	s_add_u32 s2, s4, s2
	s_addc_u32 s3, s5, s3
	s_mul_hi_u32 s4, s82, s89
	s_mul_i32 s5, s84, s89
	s_add_i32 s17, s4, s5
	s_and_b32 s16, s2, 0x3ffffff
	s_lshr_b64 s[2:3], s[2:3], 26
	s_mul_i32 s20, s78, s18
	s_mul_i32 s21, s83, s87
	s_lshl_b64 s[4:5], s[24:25], 10
	s_add_u32 s20, s21, s20
	s_mul_hi_u32 s21, s78, s18
	s_mul_hi_u32 s22, s83, s87
	s_addc_u32 s21, s22, s21
	s_mul_i32 s22, s79, s30
	s_add_u32 s20, s20, s22
	s_mul_hi_u32 s22, s79, s30
	s_addc_u32 s21, s21, s22
	s_add_u32 s0, s20, s0
	s_addc_u32 s1, s21, s1
	s_and_b32 s24, s0, 0x3ffffff
	s_lshr_b64 s[0:1], s[0:1], 26
	s_mul_i32 s20, s61, s92
	s_mul_i32 s21, s66, s86
	s_add_u32 s20, s20, s21
	s_mul_hi_u32 s21, s61, s92
	s_mul_hi_u32 s22, s66, s86
	s_addc_u32 s21, s21, s22
	s_mul_i32 s22, s77, s91
	s_add_u32 s20, s20, s22
	s_mul_hi_u32 s22, s77, s91
	s_addc_u32 s21, s21, s22
	s_mul_i32 s22, s76, s90
	s_add_u32 s20, s20, s22
	;; [unrolled: 4-line block ×4, first 2 shown]
	s_addc_u32 s17, s21, s17
	s_mul_i32 s21, s80, s88
	s_add_u32 s20, s20, s21
	s_mul_hi_u32 s21, s80, s88
	s_addc_u32 s17, s17, s21
	s_add_u32 s4, s20, s4
	s_addc_u32 s5, s17, s5
	s_mul_i32 s17, s24, 0x3d10
	s_add_u32 s4, s4, s17
	s_mul_hi_u32 s17, s24, 0x3d10
	s_addc_u32 s5, s5, s17
	s_add_u32 s2, s4, s2
	s_addc_u32 s3, s5, s3
	s_mul_hi_u32 s4, s82, s85
	s_mul_i32 s5, s84, s85
	s_add_i32 s20, s4, s5
	s_and_b32 s17, s2, 0x3ffffff
	s_lshr_b64 s[2:3], s[2:3], 26
	s_mul_i32 s21, s79, s18
	s_mul_i32 s22, s83, s30
	s_lshl_b64 s[4:5], s[24:25], 10
	s_add_u32 s21, s22, s21
	s_mul_hi_u32 s22, s79, s18
	s_mul_hi_u32 s23, s83, s30
	s_addc_u32 s22, s23, s22
	s_add_u32 s0, s21, s0
	s_addc_u32 s1, s22, s1
	s_and_b32 s24, s0, 0x3ffffff
	s_lshr_b64 s[0:1], s[0:1], 26
	s_mul_i32 s21, s66, s92
	s_mul_i32 s22, s78, s86
	s_add_u32 s21, s21, s22
	s_mul_hi_u32 s22, s66, s92
	s_mul_hi_u32 s23, s78, s86
	s_addc_u32 s22, s22, s23
	s_mul_i32 s23, s61, s91
	s_add_u32 s21, s21, s23
	s_mul_hi_u32 s23, s61, s91
	s_addc_u32 s22, s22, s23
	s_mul_i32 s23, s77, s90
	s_add_u32 s21, s21, s23
	;; [unrolled: 4-line block ×3, first 2 shown]
	s_addc_u32 s20, s22, s20
	s_mul_i32 s22, s76, s89
	s_add_u32 s21, s21, s22
	s_mul_hi_u32 s22, s76, s89
	s_addc_u32 s20, s20, s22
	s_mul_i32 s22, s81, s88
	s_add_u32 s21, s21, s22
	s_mul_hi_u32 s22, s81, s88
	;; [unrolled: 4-line block ×3, first 2 shown]
	s_addc_u32 s20, s20, s22
	s_add_u32 s4, s21, s4
	s_addc_u32 s5, s20, s5
	s_mul_i32 s20, s24, 0x3d10
	s_add_u32 s4, s4, s20
	s_mul_hi_u32 s20, s24, 0x3d10
	s_addc_u32 s5, s5, s20
	s_add_u32 s2, s4, s2
	s_addc_u32 s3, s5, s3
	s_mul_hi_u32 s4, s82, s88
	s_mul_i32 s5, s84, s88
	s_add_i32 s20, s4, s5
	s_mul_hi_u32 s21, s83, s18
	s_mul_i32 s22, s83, s18
	s_and_b32 s18, s2, 0x3ffffff
	s_lshr_b64 s[2:3], s[2:3], 26
	s_lshl_b64 s[4:5], s[24:25], 10
	s_add_u32 s0, s0, s22
	s_addc_u32 s1, s1, s21
	s_and_b32 s24, s0, 0x3ffffff
	s_lshr_b64 s[0:1], s[0:1], 26
	s_mul_i32 s21, s78, s92
	s_mul_i32 s22, s79, s86
	s_add_u32 s21, s21, s22
	s_mul_hi_u32 s22, s78, s92
	s_mul_hi_u32 s23, s79, s86
	s_addc_u32 s22, s22, s23
	s_mul_i32 s23, s66, s91
	s_add_u32 s21, s21, s23
	s_mul_hi_u32 s23, s66, s91
	s_addc_u32 s22, s22, s23
	s_mul_i32 s23, s61, s90
	s_add_u32 s21, s21, s23
	;; [unrolled: 4-line block ×5, first 2 shown]
	s_addc_u32 s20, s22, s20
	s_mul_i32 s22, s81, s87
	s_add_u32 s21, s21, s22
	s_mul_hi_u32 s22, s81, s87
	s_addc_u32 s57, s20, s22
	s_mul_i32 s20, s80, s30
	s_add_u32 s53, s21, s20
	s_mul_hi_u32 s21, s80, s30
	s_addc_u32 s21, s57, s21
	s_add_u32 s4, s53, s4
	s_addc_u32 s5, s21, s5
	s_mul_i32 s21, s24, 0x3d10
	s_mul_hi_u32 s23, s24, 0x3d10
	s_add_u32 s4, s4, s21
	s_addc_u32 s5, s5, s23
	s_add_u32 s2, s4, s2
	s_addc_u32 s3, s5, s3
	s_mul_i32 s21, s0, 0x3d10
	s_and_b32 s53, s2, 0x3ffffff
	s_lshl_b64 s[4:5], s[24:25], 10
	s_lshr_b64 s[2:3], s[2:3], 26
	s_add_u32 s21, s21, s54
	s_mul_hi_u32 s23, s0, 0x3d10
	s_addc_u32 s23, s23, 0
	s_add_u32 s4, s21, s4
	s_addc_u32 s5, s23, s5
	s_add_u32 s2, s4, s2
	s_addc_u32 s3, s5, s3
	s_lshl_b64 s[0:1], s[0:1], 14
	s_and_b32 s54, s2, 0x3fffff
	s_lshr_b64 s[2:3], s[2:3], 22
	s_add_u32 s0, s2, s0
	s_addc_u32 s1, s3, s1
	s_mul_hi_u32 s2, s0, 0x3d1
	s_mul_i32 s3, s1, 0x3d1
	s_add_i32 s3, s2, s3
	s_mul_i32 s2, s0, 0x3d1
	s_add_u32 s2, s2, s55
	s_addc_u32 s3, s3, 0
	s_lshl_b64 s[0:1], s[0:1], 6
	s_and_b32 s55, s2, 0x3ffffff
	s_lshr_b64 s[2:3], s[2:3], 26
	s_add_u32 s0, s0, s56
	s_addc_u32 s1, s1, 0
	s_add_u32 s0, s0, s2
	s_addc_u32 s1, s1, s3
	s_and_b32 s33, s0, 0x3ffffff
	s_lshr_b64 s[0:1], s[0:1], 26
	s_add_i32 s41, s0, s62
	s_lshr_b32 s0, s75, 22
	s_mul_i32 s1, s0, 0x3d1
	s_add_i32 s1, s34, s1
	s_lshl_b32 s0, s0, 6
	s_add_i32 s0, s45, s0
	s_lshr_b32 s26, s1, 26
	s_add_i32 s0, s0, s26
	s_lshr_b32 s26, s0, 26
	s_add_i32 s26, s26, vcc_hi
	s_lshr_b32 s27, s26, 26
	s_add_i32 s27, s27, s38
	s_lshr_b32 s30, s27, 26
	s_add_i32 s38, s30, s39
	s_lshr_b32 s30, s38, 26
	s_add_i32 s44, s30, s44
	s_lshr_b32 s30, s44, 26
	s_add_i32 s46, s30, vcc_lo
	s_lshr_b32 s30, s46, 26
	s_add_i32 s56, s30, s64
	s_lshr_b32 s30, s56, 26
	s_add_i32 s57, s30, s93
	s_and_b32 s24, s75, 0x3fffff
	s_lshr_b32 s34, s57, 26
	s_mul_i32 s3, s79, s70
	s_add_i32 s34, s34, s24
	s_mul_i32 s24, s83, s19
	s_and_b32 s47, s1, 0x3ffffff
	s_and_b32 s90, s0, 0x3ffffff
	;; [unrolled: 1-line block ×9, first 2 shown]
	s_mul_hi_u32 s23, s79, s70
	s_add_u32 s0, s3, s24
	s_mul_hi_u32 s1, s83, s19
	s_addc_u32 s1, s23, s1
	s_mul_i32 s3, s78, s72
	s_add_u32 s0, s0, s3
	s_mul_hi_u32 s3, s78, s72
	s_mul_i32 s2, s66, s73
	s_addc_u32 s1, s1, s3
	s_mul_hi_u32 s3, s66, s73
	s_add_u32 s0, s0, s2
	s_mul_hi_u32 s2, s82, s69
	s_addc_u32 s1, s1, s3
	s_mul_i32 s3, s84, s69
	s_mul_i32 s5, s77, s58
	s_add_i32 s2, s2, s3
	s_mul_hi_u32 s3, s77, s58
	s_add_u32 s0, s0, s5
	s_mul_i32 s5, s61, s74
	s_addc_u32 s1, s1, s3
	s_mul_hi_u32 s3, s61, s74
	s_add_u32 s0, s0, s5
	s_mul_i32 s20, s76, s60
	s_addc_u32 s1, s1, s3
	s_mul_hi_u32 s22, s76, s60
	s_add_u32 s0, s0, s20
	s_addc_u32 s1, s1, s22
	s_mul_i32 s22, s82, s69
	s_add_u32 s0, s0, s22
	s_mul_i32 s22, s80, s59
	s_addc_u32 s1, s1, s2
	s_mul_hi_u32 s2, s80, s59
	s_add_u32 s0, s0, s22
	s_mul_i32 s22, s81, s71
	s_addc_u32 s1, s1, s2
	s_mul_hi_u32 s2, s81, s71
	s_add_u32 s0, s0, s22
	s_addc_u32 s1, s1, s2
	s_mul_i32 s3, s79, s72
	s_mul_i32 s2, s83, s70
	s_and_b32 s75, s0, 0x3ffffff
	s_lshr_b64 s[0:1], s[0:1], 26
	s_mul_hi_u32 s20, s79, s72
	s_add_u32 s2, s3, s2
	s_mul_hi_u32 s3, s83, s70
	s_mul_i32 s5, s78, s73
	s_addc_u32 s3, s20, s3
	s_mul_hi_u32 s20, s78, s73
	s_add_u32 s2, s2, s5
	s_mul_hi_u32 s5, s82, s71
	s_addc_u32 s3, s3, s20
	s_mul_i32 s20, s84, s71
	s_add_i32 s5, s5, s20
	s_mul_i32 s20, s61, s58
	s_add_u32 s2, s2, s20
	s_mul_hi_u32 s20, s61, s58
	s_addc_u32 s3, s3, s20
	s_mul_i32 s20, s66, s74
	s_add_u32 s2, s2, s20
	s_mul_hi_u32 s20, s66, s74
	s_addc_u32 s3, s3, s20
	s_mul_i32 s20, s77, s60
	s_add_u32 s2, s2, s20
	s_mul_hi_u32 s20, s77, s60
	s_mul_i32 s21, s76, s69
	s_addc_u32 s3, s3, s20
	s_mul_hi_u32 s4, s76, s69
	s_add_u32 s2, s2, s21
	s_addc_u32 s3, s3, s4
	s_mul_i32 s4, s81, s59
	s_add_u32 s2, s2, s4
	s_mul_hi_u32 s4, s81, s59
	s_addc_u32 s3, s3, s4
	s_mul_i32 s4, s82, s71
	s_add_u32 s2, s2, s4
	s_addc_u32 s3, s3, s5
	s_add_u32 s0, s2, s0
	s_addc_u32 s1, s3, s1
	s_and_b32 s24, s0, 0x3ffffff
	s_mul_i32 s4, s80, s19
	s_lshr_b64 s[2:3], s[0:1], 26
	s_mul_i32 s0, s24, 0x3d10
	s_mul_hi_u32 s5, s80, s19
	s_mul_hi_u32 s1, s24, 0x3d10
	s_add_u32 s0, s0, s4
	s_addc_u32 s1, s1, s5
	s_mul_i32 s20, s79, s73
	s_mul_i32 s21, s83, s72
	s_and_b32 s85, s0, 0x3ffffff
	s_lshr_b64 s[0:1], s[0:1], 26
	s_lshl_b64 s[4:5], s[24:25], 10
	s_add_u32 s20, s20, s21
	s_mul_hi_u32 s21, s79, s73
	s_mul_hi_u32 s22, s83, s72
	s_addc_u32 s21, s21, s22
	s_mul_hi_u32 s22, s82, s59
	s_mul_i32 s23, s84, s59
	s_add_i32 s22, s22, s23
	s_mul_i32 s23, s66, s58
	s_add_u32 s20, s20, s23
	s_mul_hi_u32 s23, s66, s58
	s_addc_u32 s21, s21, s23
	s_mul_i32 s23, s78, s74
	s_add_u32 s20, s20, s23
	s_mul_hi_u32 s23, s78, s74
	s_addc_u32 s21, s21, s23
	;; [unrolled: 4-line block ×4, first 2 shown]
	s_mul_i32 s23, s82, s59
	s_add_u32 s20, s20, s23
	s_addc_u32 s21, s21, s22
	s_mul_i32 s22, s76, s71
	s_add_u32 s20, s20, s22
	s_mul_hi_u32 s22, s76, s71
	s_addc_u32 s21, s21, s22
	s_add_u32 s2, s20, s2
	s_addc_u32 s3, s21, s3
	s_mul_i32 s20, s80, s70
	s_and_b32 s24, s2, 0x3ffffff
	s_lshr_b64 s[2:3], s[2:3], 26
	s_mul_i32 s21, s81, s19
	s_add_u32 s20, s20, s21
	s_mul_hi_u32 s21, s80, s70
	s_mul_hi_u32 s22, s81, s19
	s_addc_u32 s21, s21, s22
	s_add_u32 s4, s20, s4
	s_addc_u32 s5, s21, s5
	s_add_u32 s0, s4, s0
	s_addc_u32 s1, s5, s1
	s_mul_i32 s4, s24, 0x3d10
	s_mul_hi_u32 s5, s24, 0x3d10
	s_add_u32 s0, s0, s4
	s_addc_u32 s1, s1, s5
	s_mul_hi_u32 s4, s82, s19
	s_mul_i32 s5, s84, s19
	s_mul_i32 s20, s78, s58
	s_add_i32 s21, s4, s5
	s_and_b32 s86, s0, 0x3ffffff
	s_lshr_b64 s[0:1], s[0:1], 26
	s_mul_i32 s22, s83, s73
	s_lshl_b64 s[4:5], s[24:25], 10
	s_add_u32 s20, s20, s22
	s_mul_hi_u32 s22, s78, s58
	s_mul_hi_u32 s23, s83, s73
	s_addc_u32 s22, s22, s23
	s_mul_i32 s23, s79, s74
	s_add_u32 s20, s20, s23
	s_mul_hi_u32 s23, s79, s74
	s_addc_u32 s22, s22, s23
	s_mul_i32 s23, s66, s60
	s_add_u32 s20, s20, s23
	s_mul_hi_u32 s23, s66, s60
	s_addc_u32 s22, s22, s23
	s_mul_i32 s23, s61, s69
	s_add_u32 s20, s20, s23
	s_mul_hi_u32 s23, s61, s69
	s_addc_u32 s22, s22, s23
	s_mul_i32 s23, s76, s59
	s_add_u32 s20, s20, s23
	s_mul_hi_u32 s23, s76, s59
	s_addc_u32 s22, s22, s23
	s_mul_i32 s23, s77, s71
	s_add_u32 s20, s20, s23
	s_mul_hi_u32 s23, s77, s71
	s_addc_u32 s22, s22, s23
	s_add_u32 s2, s20, s2
	s_addc_u32 s3, s22, s3
	s_and_b32 s24, s2, 0x3ffffff
	s_lshr_b64 s[2:3], s[2:3], 26
	s_mul_i32 s20, s81, s70
	s_mul_i32 s22, s82, s19
	s_add_u32 s20, s20, s22
	s_mul_hi_u32 s22, s81, s70
	s_addc_u32 s21, s22, s21
	s_mul_i32 s22, s80, s72
	s_add_u32 s20, s20, s22
	s_mul_hi_u32 s22, s80, s72
	s_addc_u32 s21, s21, s22
	s_add_u32 s4, s20, s4
	s_addc_u32 s5, s21, s5
	s_mul_i32 s20, s24, 0x3d10
	s_add_u32 s4, s4, s20
	s_mul_hi_u32 s20, s24, 0x3d10
	s_addc_u32 s5, s5, s20
	s_add_u32 s0, s4, s0
	s_addc_u32 s1, s5, s1
	s_mul_hi_u32 s4, s82, s70
	s_mul_i32 s5, s84, s70
	s_add_i32 s20, s4, s5
	s_and_b32 s87, s0, 0x3ffffff
	s_lshr_b64 s[0:1], s[0:1], 26
	s_mul_i32 s21, s79, s58
	s_mul_i32 s22, s83, s74
	s_lshl_b64 s[4:5], s[24:25], 10
	s_add_u32 s21, s22, s21
	s_mul_hi_u32 s22, s79, s58
	s_mul_hi_u32 s23, s83, s74
	s_addc_u32 s22, s23, s22
	s_mul_i32 s23, s78, s60
	s_add_u32 s21, s21, s23
	s_mul_hi_u32 s23, s78, s60
	s_addc_u32 s22, s22, s23
	s_mul_i32 s23, s66, s69
	s_add_u32 s21, s21, s23
	;; [unrolled: 4-line block ×4, first 2 shown]
	s_mul_hi_u32 s23, s61, s71
	s_addc_u32 s22, s22, s23
	s_add_u32 s2, s21, s2
	s_addc_u32 s3, s22, s3
	s_and_b32 s24, s2, 0x3ffffff
	s_lshr_b64 s[2:3], s[2:3], 26
	s_mul_i32 s21, s76, s19
	s_mul_i32 s22, s82, s70
	s_add_u32 s21, s22, s21
	s_mul_hi_u32 s22, s76, s19
	s_addc_u32 s20, s20, s22
	s_mul_i32 s22, s81, s72
	s_add_u32 s21, s21, s22
	s_mul_hi_u32 s22, s81, s72
	s_addc_u32 s20, s20, s22
	;; [unrolled: 4-line block ×3, first 2 shown]
	s_add_u32 s4, s21, s4
	s_addc_u32 s5, s20, s5
	s_mul_i32 s20, s24, 0x3d10
	s_add_u32 s4, s4, s20
	s_mul_hi_u32 s20, s24, 0x3d10
	s_addc_u32 s5, s5, s20
	s_add_u32 s0, s4, s0
	s_addc_u32 s1, s5, s1
	s_mul_hi_u32 s4, s82, s72
	s_mul_i32 s5, s84, s72
	s_add_i32 s20, s4, s5
	s_and_b32 s56, s0, 0x3ffffff
	s_lshr_b64 s[0:1], s[0:1], 26
	s_mul_i32 s21, s79, s60
	s_mul_i32 s22, s83, s58
	s_lshl_b64 s[4:5], s[24:25], 10
	s_add_u32 s21, s21, s22
	s_mul_hi_u32 s22, s79, s60
	s_mul_hi_u32 s23, s83, s58
	s_addc_u32 s22, s22, s23
	s_mul_i32 s23, s78, s69
	s_add_u32 s21, s21, s23
	s_mul_hi_u32 s23, s78, s69
	s_addc_u32 s22, s22, s23
	s_mul_i32 s23, s61, s59
	s_add_u32 s21, s21, s23
	;; [unrolled: 4-line block ×3, first 2 shown]
	s_mul_hi_u32 s23, s66, s71
	s_addc_u32 s22, s22, s23
	s_add_u32 s2, s21, s2
	s_addc_u32 s3, s22, s3
	s_and_b32 s24, s2, 0x3ffffff
	s_lshr_b64 s[2:3], s[2:3], 26
	s_mul_i32 s21, s76, s70
	s_mul_i32 s22, s77, s19
	s_add_u32 s21, s21, s22
	s_mul_hi_u32 s22, s76, s70
	s_mul_hi_u32 s23, s77, s19
	s_addc_u32 s22, s22, s23
	s_mul_i32 s23, s82, s72
	s_add_u32 s21, s21, s23
	s_addc_u32 s20, s22, s20
	s_mul_i32 s22, s81, s73
	s_add_u32 s21, s21, s22
	s_mul_hi_u32 s22, s81, s73
	s_addc_u32 s20, s20, s22
	s_mul_i32 s22, s80, s74
	s_add_u32 s21, s21, s22
	s_mul_hi_u32 s22, s80, s74
	s_addc_u32 s20, s20, s22
	s_add_u32 s4, s21, s4
	s_addc_u32 s5, s20, s5
	s_mul_i32 s20, s24, 0x3d10
	s_add_u32 s4, s4, s20
	s_mul_hi_u32 s20, s24, 0x3d10
	s_addc_u32 s5, s5, s20
	s_add_u32 s0, s4, s0
	s_addc_u32 s1, s5, s1
	s_mul_hi_u32 s4, s82, s73
	s_mul_i32 s5, s84, s73
	s_add_i32 s20, s4, s5
	s_and_b32 s62, s0, 0x3ffffff
	s_lshr_b64 s[0:1], s[0:1], 26
	s_mul_i32 s21, s79, s69
	s_mul_i32 s22, s83, s60
	s_lshl_b64 s[4:5], s[24:25], 10
	s_add_u32 s21, s21, s22
	s_mul_hi_u32 s22, s79, s69
	s_mul_hi_u32 s23, s83, s60
	s_addc_u32 s22, s22, s23
	s_mul_i32 s23, s66, s59
	s_add_u32 s21, s21, s23
	s_mul_hi_u32 s23, s66, s59
	s_addc_u32 s22, s22, s23
	s_mul_i32 s23, s78, s71
	s_add_u32 s21, s21, s23
	s_mul_hi_u32 s23, s78, s71
	s_addc_u32 s22, s22, s23
	s_add_u32 s2, s21, s2
	s_addc_u32 s3, s22, s3
	s_and_b32 s24, s2, 0x3ffffff
	s_lshr_b64 s[2:3], s[2:3], 26
	s_mul_i32 s21, s77, s70
	s_mul_i32 s22, s61, s19
	s_add_u32 s21, s21, s22
	s_mul_hi_u32 s22, s77, s70
	s_mul_hi_u32 s23, s61, s19
	s_addc_u32 s22, s22, s23
	s_mul_i32 s23, s76, s72
	s_add_u32 s21, s21, s23
	s_mul_hi_u32 s23, s76, s72
	s_addc_u32 s22, s22, s23
	s_mul_i32 s23, s82, s73
	s_add_u32 s21, s21, s23
	s_addc_u32 s20, s22, s20
	s_mul_i32 s22, s80, s58
	s_add_u32 s21, s21, s22
	s_mul_hi_u32 s22, s80, s58
	s_addc_u32 s20, s20, s22
	s_mul_i32 s22, s81, s74
	s_add_u32 s21, s21, s22
	s_mul_hi_u32 s22, s81, s74
	s_addc_u32 s20, s20, s22
	s_add_u32 s4, s21, s4
	s_addc_u32 s5, s20, s5
	s_mul_i32 s20, s24, 0x3d10
	s_add_u32 s4, s4, s20
	s_mul_hi_u32 s20, s24, 0x3d10
	s_addc_u32 s5, s5, s20
	s_add_u32 s0, s4, s0
	s_addc_u32 s1, s5, s1
	s_mul_hi_u32 s4, s82, s74
	s_mul_i32 s5, s84, s74
	s_add_i32 s20, s4, s5
	s_and_b32 s65, s0, 0x3ffffff
	s_lshr_b64 s[0:1], s[0:1], 26
	s_mul_i32 s21, s78, s59
	s_mul_i32 s22, s83, s69
	s_lshl_b64 s[4:5], s[24:25], 10
	s_add_u32 s21, s21, s22
	s_mul_hi_u32 s22, s78, s59
	s_mul_hi_u32 s23, s83, s69
	s_addc_u32 s22, s22, s23
	s_mul_i32 s23, s79, s71
	s_add_u32 s21, s21, s23
	s_mul_hi_u32 s23, s79, s71
	s_addc_u32 s22, s22, s23
	s_add_u32 s2, s21, s2
	s_addc_u32 s3, s22, s3
	s_and_b32 s24, s2, 0x3ffffff
	s_lshr_b64 s[2:3], s[2:3], 26
	s_mul_i32 s21, s61, s70
	s_mul_i32 s22, s66, s19
	s_add_u32 s21, s21, s22
	s_mul_hi_u32 s22, s61, s70
	s_mul_hi_u32 s23, s66, s19
	s_addc_u32 s22, s22, s23
	s_mul_i32 s23, s77, s72
	s_add_u32 s21, s21, s23
	s_mul_hi_u32 s23, s77, s72
	s_addc_u32 s22, s22, s23
	s_mul_i32 s23, s76, s73
	s_add_u32 s21, s21, s23
	;; [unrolled: 4-line block ×4, first 2 shown]
	s_addc_u32 s20, s22, s20
	s_mul_i32 s22, s80, s60
	s_add_u32 s21, s21, s22
	s_mul_hi_u32 s22, s80, s60
	s_addc_u32 s20, s20, s22
	s_add_u32 s4, s21, s4
	s_addc_u32 s5, s20, s5
	s_mul_i32 s20, s24, 0x3d10
	s_add_u32 s4, s4, s20
	s_mul_hi_u32 s20, s24, 0x3d10
	s_addc_u32 s5, s5, s20
	s_add_u32 s0, s4, s0
	s_addc_u32 s1, s5, s1
	s_mul_hi_u32 s4, s82, s58
	s_mul_i32 s5, s84, s58
	s_add_i32 s20, s4, s5
	s_and_b32 s68, s0, 0x3ffffff
	s_lshr_b64 s[0:1], s[0:1], 26
	s_mul_i32 s21, s79, s59
	s_mul_i32 s22, s83, s71
	s_lshl_b64 s[4:5], s[24:25], 10
	s_add_u32 s21, s22, s21
	s_mul_hi_u32 s22, s79, s59
	s_mul_hi_u32 s23, s83, s71
	s_addc_u32 s22, s23, s22
	s_add_u32 s2, s21, s2
	s_addc_u32 s3, s22, s3
	s_and_b32 s24, s2, 0x3ffffff
	s_lshr_b64 s[88:89], s[2:3], 26
	s_mul_i32 s2, s66, s70
	s_mul_i32 s3, s78, s19
	s_add_u32 s2, s2, s3
	s_mul_hi_u32 s3, s66, s70
	s_mul_hi_u32 s21, s78, s19
	s_addc_u32 s3, s3, s21
	s_mul_i32 s21, s61, s72
	s_add_u32 s2, s2, s21
	s_mul_hi_u32 s21, s61, s72
	s_addc_u32 s3, s3, s21
	s_mul_i32 s21, s77, s73
	s_add_u32 s2, s2, s21
	;; [unrolled: 4-line block ×3, first 2 shown]
	s_addc_u32 s3, s3, s20
	s_mul_i32 s20, s76, s74
	s_add_u32 s2, s2, s20
	s_mul_hi_u32 s20, s76, s74
	s_addc_u32 s3, s3, s20
	s_mul_i32 s20, s81, s60
	s_add_u32 s2, s2, s20
	s_mul_hi_u32 s20, s81, s60
	;; [unrolled: 4-line block ×3, first 2 shown]
	s_addc_u32 s3, s3, s20
	s_add_u32 s2, s2, s4
	s_addc_u32 s3, s3, s5
	s_mul_i32 s4, s24, 0x3d10
	s_add_u32 s2, s2, s4
	s_mul_hi_u32 s4, s24, 0x3d10
	s_addc_u32 s3, s3, s4
	s_add_u32 s0, s2, s0
	s_addc_u32 s1, s3, s1
	s_mul_hi_u32 s5, s83, s59
	s_mul_i32 s4, s83, s59
	s_mul_i32 s84, s84, s60
	s_mul_hi_u32 s83, s82, s60
	s_add_i32 s83, s83, s84
	s_and_b32 s59, s0, 0x3ffffff
	s_lshr_b64 s[0:1], s[0:1], 26
	s_lshl_b64 s[2:3], s[24:25], 10
	s_add_u32 s4, s88, s4
	s_addc_u32 s5, s89, s5
	s_mul_hi_u32 s21, s78, s70
	s_mul_i32 s78, s78, s70
	s_mul_hi_u32 s22, s79, s19
	s_mul_i32 s79, s79, s19
	s_and_b32 s24, s4, 0x3ffffff
	s_lshr_b64 s[4:5], s[4:5], 26
	s_add_u32 s23, s78, s79
	s_mul_hi_u32 s20, s66, s72
	s_mul_i32 s66, s66, s72
	s_addc_u32 s21, s21, s22
	s_mul_hi_u32 s67, s76, s58
	s_mul_i32 s76, s76, s58
	s_mul_hi_u32 s58, s81, s69
	s_mul_i32 s81, s81, s69
	s_add_u32 s69, s23, s66
	s_mul_hi_u32 s57, s77, s74
	s_mul_i32 s77, s77, s74
	s_mul_hi_u32 s74, s61, s73
	s_mul_i32 s61, s61, s73
	s_mul_i32 s82, s82, s60
	s_addc_u32 s60, s21, s20
	s_add_u32 s20, s69, s61
	s_addc_u32 s21, s60, s74
	s_add_u32 s20, s20, s76
	;; [unrolled: 2-line block ×5, first 2 shown]
	s_mul_hi_u32 s19, s80, s71
	s_mul_i32 s80, s80, s71
	s_addc_u32 s21, s21, s58
	s_add_u32 s20, s20, s80
	s_addc_u32 s19, s21, s19
	s_add_u32 s2, s20, s2
	s_addc_u32 s3, s19, s3
	s_mul_i32 s20, s24, 0x3d10
	s_mul_hi_u32 s19, s24, 0x3d10
	s_add_u32 s2, s2, s20
	s_addc_u32 s3, s3, s19
	s_add_u32 s0, s2, s0
	s_addc_u32 s1, s3, s1
	s_mul_i32 s20, s4, 0x3d10
	s_and_b32 s19, s0, 0x3ffffff
	s_lshl_b64 s[2:3], s[24:25], 10
	s_lshr_b64 s[0:1], s[0:1], 26
	s_add_u32 s20, s20, s75
	s_mul_hi_u32 s21, s4, 0x3d10
	s_addc_u32 s21, s21, 0
	s_add_u32 s2, s20, s2
	s_addc_u32 s3, s21, s3
	s_add_u32 s0, s2, s0
	s_addc_u32 s1, s3, s1
	s_and_b32 s70, s0, 0x3fffff
	s_lshl_b64 s[2:3], s[4:5], 14
	s_lshr_b64 s[0:1], s[0:1], 22
	s_add_u32 s0, s0, s2
	s_addc_u32 s1, s1, s3
	s_mul_hi_u32 s2, s0, 0x3d1
	s_mul_i32 s3, s1, 0x3d1
	s_add_i32 s3, s2, s3
	s_mul_i32 s2, s0, 0x3d1
	s_add_u32 s2, s2, s85
	s_addc_u32 s3, s3, 0
	s_and_b32 s58, s2, 0x3ffffff
	s_lshl_b64 s[0:1], s[0:1], 6
	s_lshr_b64 s[2:3], s[2:3], 26
	s_add_u32 s0, s0, s86
	s_addc_u32 s1, s1, 0
	s_add_u32 s0, s0, s2
	s_addc_u32 s1, s1, s3
	s_and_b32 s60, s0, 0x3ffffff
	s_lshr_b64 s[0:1], s[0:1], 26
	s_add_u32 s61, s0, s87
	s_addc_u32 s71, s1, 0
	s_mul_i32 s2, s58, s29
	s_mul_hi_u32 s3, s58, s28
	s_mul_hi_u32 s0, s61, s51
	s_mul_i32 s1, s71, s51
	s_mul_i32 s73, s56, s50
	;; [unrolled: 1-line block ×3, first 2 shown]
	s_add_i32 s3, s3, s2
	s_add_i32 s1, s0, s1
	s_mul_hi_u32 s66, s56, s50
	s_mul_hi_u32 s20, s62, s37
	s_add_u32 s0, s4, s73
	s_addc_u32 s4, s20, s66
	s_mul_i32 s20, s65, s36
	s_add_u32 s0, s0, s20
	s_mul_hi_u32 s20, s65, s36
	s_addc_u32 s4, s4, s20
	s_mul_i32 s20, s68, s35
	s_add_u32 s0, s0, s20
	s_mul_hi_u32 s20, s68, s35
	s_addc_u32 s4, s4, s20
	s_mul_i32 s20, s59, s43
	s_add_u32 s0, s0, s20
	s_mul_hi_u32 s20, s59, s43
	s_addc_u32 s4, s4, s20
	s_mul_i32 s20, s19, s42
	s_add_u32 s0, s0, s20
	s_mul_hi_u32 s20, s19, s42
	s_addc_u32 s4, s4, s20
	s_mul_i32 s20, s70, s63
	s_add_u32 s0, s0, s20
	s_mul_hi_u32 s20, s70, s63
	s_addc_u32 s4, s4, s20
	s_mul_i32 s20, s58, s28
	s_add_u32 s0, s0, s20
	s_addc_u32 s3, s4, s3
	s_mul_i32 s4, s60, s40
	s_mul_hi_u32 s20, s60, s40
	s_add_u32 s0, s0, s4
	s_addc_u32 s3, s3, s20
	s_mul_i32 s20, s61, s51
	s_add_u32 s0, s0, s20
	s_mul_i32 s4, s60, s29
	s_addc_u32 s1, s3, s1
	s_mul_hi_u32 s3, s60, s28
	s_mul_hi_u32 s20, s61, s40
	s_add_i32 s3, s3, s4
	s_mul_i32 s4, s71, s40
	s_mul_i32 s74, s56, s51
	;; [unrolled: 1-line block ×3, first 2 shown]
	s_add_i32 s20, s20, s4
	s_and_b32 s66, s0, 0x3ffffff
	s_lshr_b64 s[0:1], s[0:1], 26
	s_mul_hi_u32 s69, s56, s51
	s_mul_hi_u32 s5, s62, s50
	s_add_u32 s2, s2, s74
	s_addc_u32 s5, s5, s69
	s_mul_i32 s22, s65, s37
	s_mul_hi_u32 s4, s65, s37
	s_add_u32 s2, s2, s22
	s_addc_u32 s4, s5, s4
	s_mul_i32 s5, s68, s36
	;; [unrolled: 4-line block ×6, first 2 shown]
	s_add_u32 s2, s2, s5
	s_addc_u32 s3, s4, s3
	s_mul_i32 s4, s61, s40
	s_add_u32 s2, s2, s4
	s_addc_u32 s3, s3, s20
	s_add_u32 s0, s2, s0
	s_addc_u32 s1, s3, s1
	s_and_b32 s24, s0, 0x3ffffff
	s_mul_i32 s23, s58, s63
	s_lshr_b64 s[4:5], s[0:1], 26
	s_mul_i32 s0, s24, 0x3d10
	s_mul_hi_u32 s22, s58, s63
	s_mul_i32 s26, s61, s29
	s_mul_hi_u32 s2, s61, s28
	s_mul_hi_u32 s1, s24, 0x3d10
	s_add_u32 s0, s0, s23
	s_addc_u32 s1, s1, s22
	s_mul_i32 s3, s71, s28
	s_add_i32 s2, s2, s26
	s_mul_i32 s76, s56, s40
	s_mul_i32 s21, s62, s51
	s_and_b32 s69, s0, 0x3ffffff
	s_add_i32 s20, s2, s3
	s_lshl_b64 s[2:3], s[24:25], 10
	s_lshr_b64 s[0:1], s[0:1], 26
	s_mul_hi_u32 s72, s56, s40
	s_add_u32 s21, s21, s76
	s_mul_hi_u32 s22, s62, s51
	s_addc_u32 s22, s22, s72
	s_mul_i32 s23, s65, s50
	s_add_u32 s21, s21, s23
	s_mul_hi_u32 s23, s65, s50
	s_addc_u32 s22, s22, s23
	s_mul_i32 s23, s68, s37
	;; [unrolled: 4-line block ×6, first 2 shown]
	s_add_u32 s21, s21, s23
	s_addc_u32 s20, s22, s20
	s_add_u32 s4, s21, s4
	s_addc_u32 s5, s20, s5
	s_mul_i32 s21, s58, s42
	s_mul_i32 s22, s60, s63
	s_and_b32 s24, s4, 0x3ffffff
	s_lshr_b64 s[4:5], s[4:5], 26
	s_mul_hi_u32 s20, s58, s42
	s_add_u32 s21, s22, s21
	s_mul_hi_u32 s22, s60, s63
	s_addc_u32 s20, s22, s20
	s_add_u32 s2, s21, s2
	s_addc_u32 s3, s20, s3
	s_add_u32 s0, s2, s0
	s_addc_u32 s1, s3, s1
	s_mul_i32 s3, s24, 0x3d10
	s_mul_hi_u32 s2, s24, 0x3d10
	s_add_u32 s0, s0, s3
	s_mul_i32 s67, s56, s29
	s_mul_hi_u32 s78, s56, s28
	s_mul_hi_u32 s21, s61, s63
	s_addc_u32 s1, s1, s2
	s_mul_i32 s2, s71, s63
	s_mul_i32 s79, s56, s28
	;; [unrolled: 1-line block ×3, first 2 shown]
	s_add_i32 s21, s21, s2
	s_and_b32 s72, s0, 0x3ffffff
	s_add_i32 s78, s78, s67
	s_lshl_b64 s[2:3], s[24:25], 10
	s_lshr_b64 s[0:1], s[0:1], 26
	s_mul_hi_u32 s20, s62, s40
	s_add_u32 s22, s22, s79
	s_addc_u32 s20, s20, s78
	s_mul_i32 s24, s65, s51
	s_add_u32 s22, s22, s24
	s_mul_hi_u32 s24, s65, s51
	s_addc_u32 s20, s20, s24
	s_mul_i32 s24, s68, s50
	s_add_u32 s22, s22, s24
	s_mul_hi_u32 s24, s68, s50
	;; [unrolled: 4-line block ×5, first 2 shown]
	s_addc_u32 s20, s20, s24
	s_add_u32 s4, s22, s4
	s_addc_u32 s5, s20, s5
	s_mul_i32 s20, s58, s43
	s_mul_i32 s26, s60, s42
	s_and_b32 s24, s4, 0x3ffffff
	s_lshr_b64 s[4:5], s[4:5], 26
	s_mul_hi_u32 s22, s58, s43
	s_add_u32 s20, s26, s20
	s_mul_hi_u32 s26, s60, s42
	s_addc_u32 s22, s26, s22
	s_mul_i32 s26, s61, s63
	s_add_u32 s20, s20, s26
	s_addc_u32 s21, s22, s21
	s_add_u32 s2, s20, s2
	s_addc_u32 s3, s21, s3
	s_mul_i32 s21, s24, 0x3d10
	s_add_u32 s2, s2, s21
	s_mul_hi_u32 s21, s24, 0x3d10
	s_addc_u32 s3, s3, s21
	s_add_u32 s0, s2, s0
	s_mul_i32 s23, s62, s29
	s_mul_hi_u32 s26, s62, s28
	s_addc_u32 s1, s3, s1
	s_mul_hi_u32 s2, s61, s42
	s_mul_i32 s3, s71, s42
	s_mul_i32 s22, s62, s28
	;; [unrolled: 1-line block ×3, first 2 shown]
	s_add_i32 s21, s2, s3
	s_add_i32 s26, s26, s23
	s_and_b32 s74, s0, 0x3ffffff
	s_lshl_b64 s[2:3], s[24:25], 10
	s_lshr_b64 s[0:1], s[0:1], 26
	s_add_u32 s20, s20, s22
	s_mul_hi_u32 s22, s65, s40
	s_addc_u32 s22, s22, s26
	s_mul_i32 s23, s68, s51
	s_add_u32 s20, s20, s23
	s_mul_hi_u32 s23, s68, s51
	s_addc_u32 s22, s22, s23
	s_mul_i32 s23, s59, s50
	;; [unrolled: 4-line block ×4, first 2 shown]
	s_add_u32 s20, s20, s23
	s_mul_hi_u32 s23, s70, s36
	s_addc_u32 s22, s22, s23
	s_add_u32 s4, s20, s4
	s_addc_u32 s5, s22, s5
	s_mul_i32 s81, s56, s63
	s_mul_i32 s22, s58, s35
	s_and_b32 s24, s4, 0x3ffffff
	s_lshr_b64 s[4:5], s[4:5], 26
	s_mul_hi_u32 s82, s56, s63
	s_add_u32 s22, s22, s81
	s_mul_hi_u32 s23, s58, s35
	s_addc_u32 s23, s23, s82
	s_mul_i32 s26, s60, s43
	s_add_u32 s22, s22, s26
	s_mul_hi_u32 s26, s60, s43
	s_addc_u32 s23, s23, s26
	s_mul_i32 s26, s61, s42
	s_add_u32 s22, s22, s26
	s_addc_u32 s21, s23, s21
	s_add_u32 s2, s22, s2
	s_addc_u32 s3, s21, s3
	s_mul_i32 s22, s24, 0x3d10
	s_add_u32 s2, s2, s22
	s_mul_hi_u32 s22, s24, 0x3d10
	s_addc_u32 s3, s3, s22
	s_add_u32 s0, s2, s0
	s_mul_i32 s20, s65, s29
	s_mul_hi_u32 s26, s65, s28
	s_addc_u32 s1, s3, s1
	s_mul_hi_u32 s2, s61, s43
	s_mul_i32 s3, s71, s43
	s_mul_i32 s23, s65, s28
	;; [unrolled: 1-line block ×3, first 2 shown]
	s_add_i32 s22, s2, s3
	s_add_i32 s26, s26, s20
	s_and_b32 s73, s0, 0x3ffffff
	s_lshl_b64 s[2:3], s[24:25], 10
	s_lshr_b64 s[0:1], s[0:1], 26
	s_add_u32 s20, s21, s23
	s_mul_hi_u32 s21, s68, s40
	s_addc_u32 s21, s21, s26
	s_mul_i32 s23, s59, s51
	s_add_u32 s20, s20, s23
	s_mul_hi_u32 s23, s59, s51
	s_addc_u32 s21, s21, s23
	s_mul_i32 s23, s19, s50
	;; [unrolled: 4-line block ×3, first 2 shown]
	s_add_u32 s20, s20, s23
	s_mul_hi_u32 s23, s70, s37
	s_addc_u32 s21, s21, s23
	s_add_u32 s4, s20, s4
	s_addc_u32 s5, s21, s5
	s_mul_i32 s57, s56, s42
	s_mul_i32 s20, s62, s63
	s_and_b32 s24, s4, 0x3ffffff
	s_lshr_b64 s[4:5], s[4:5], 26
	s_mul_hi_u32 s77, s56, s42
	s_mul_hi_u32 s21, s62, s63
	s_add_u32 s20, s20, s57
	s_addc_u32 s21, s21, s77
	s_mul_i32 s26, s58, s36
	s_add_u32 s20, s20, s26
	s_mul_hi_u32 s26, s58, s36
	s_addc_u32 s21, s21, s26
	s_mul_i32 s26, s60, s35
	s_add_u32 s20, s20, s26
	s_mul_hi_u32 s26, s60, s35
	s_addc_u32 s21, s21, s26
	s_mul_i32 s26, s61, s43
	s_add_u32 s20, s20, s26
	s_addc_u32 s21, s21, s22
	s_add_u32 s2, s20, s2
	s_addc_u32 s3, s21, s3
	s_mul_i32 s21, s24, 0x3d10
	s_add_u32 s2, s2, s21
	s_mul_hi_u32 s21, s24, 0x3d10
	s_addc_u32 s3, s3, s21
	s_add_u32 s0, s2, s0
	s_mul_i32 s23, s68, s29
	s_mul_hi_u32 s26, s68, s28
	s_addc_u32 s1, s3, s1
	s_mul_hi_u32 s2, s61, s35
	s_mul_i32 s3, s71, s35
	s_mul_i32 s22, s68, s28
	;; [unrolled: 1-line block ×3, first 2 shown]
	s_add_i32 s21, s2, s3
	s_add_i32 s26, s26, s23
	s_and_b32 s67, s0, 0x3ffffff
	s_lshl_b64 s[2:3], s[24:25], 10
	s_lshr_b64 s[0:1], s[0:1], 26
	s_add_u32 s20, s20, s22
	s_mul_hi_u32 s22, s59, s40
	s_addc_u32 s22, s22, s26
	s_mul_i32 s23, s19, s51
	s_add_u32 s20, s20, s23
	s_mul_hi_u32 s23, s19, s51
	s_addc_u32 s22, s22, s23
	s_mul_i32 s23, s70, s50
	s_add_u32 s20, s20, s23
	s_mul_hi_u32 s23, s70, s50
	s_addc_u32 s22, s22, s23
	s_add_u32 s4, s20, s4
	s_addc_u32 s5, s22, s5
	s_mul_i32 s75, s56, s43
	s_mul_i32 s22, s62, s42
	s_and_b32 s24, s4, 0x3ffffff
	s_lshr_b64 s[4:5], s[4:5], 26
	s_mul_hi_u32 s78, s56, s43
	s_mul_hi_u32 s23, s62, s42
	s_add_u32 s22, s22, s75
	s_mul_i32 s26, s65, s63
	s_addc_u32 s23, s23, s78
	s_mul_hi_u32 s27, s65, s63
	s_add_u32 s22, s22, s26
	s_addc_u32 s23, s23, s27
	s_mul_i32 s27, s58, s37
	s_add_u32 s22, s22, s27
	s_mul_hi_u32 s27, s58, s37
	s_addc_u32 s23, s23, s27
	s_mul_i32 s27, s60, s36
	s_add_u32 s22, s22, s27
	s_mul_hi_u32 s27, s60, s36
	s_addc_u32 s23, s23, s27
	s_mul_i32 s27, s61, s35
	s_add_u32 s22, s22, s27
	s_addc_u32 s21, s23, s21
	s_add_u32 s2, s22, s2
	s_addc_u32 s3, s21, s3
	s_mul_i32 s22, s24, 0x3d10
	s_add_u32 s2, s2, s22
	s_mul_hi_u32 s22, s24, 0x3d10
	s_addc_u32 s3, s3, s22
	s_add_u32 s0, s2, s0
	s_mul_i32 s26, s59, s29
	s_mul_hi_u32 s27, s59, s28
	s_addc_u32 s1, s3, s1
	s_mul_hi_u32 s2, s61, s36
	s_mul_i32 s3, s71, s36
	s_mul_i32 s23, s59, s28
	;; [unrolled: 1-line block ×3, first 2 shown]
	s_add_i32 s22, s2, s3
	s_add_i32 s27, s27, s26
	s_and_b32 s57, s0, 0x3ffffff
	s_lshl_b64 s[2:3], s[24:25], 10
	s_lshr_b64 s[0:1], s[0:1], 26
	s_add_u32 s21, s21, s23
	s_mul_hi_u32 s23, s19, s40
	s_addc_u32 s23, s23, s27
	s_mul_i32 s24, s70, s51
	s_add_u32 s21, s21, s24
	s_mul_hi_u32 s24, s70, s51
	s_addc_u32 s23, s23, s24
	s_add_u32 s4, s21, s4
	s_addc_u32 s5, s23, s5
	s_mul_i32 s76, s56, s35
	s_mul_i32 s23, s62, s43
	s_and_b32 s24, s4, 0x3ffffff
	s_lshr_b64 s[78:79], s[4:5], 26
	s_mul_hi_u32 s20, s56, s35
	s_mul_hi_u32 s26, s62, s43
	s_add_u32 s4, s23, s76
	s_mul_i32 s5, s65, s42
	s_addc_u32 s20, s26, s20
	s_mul_hi_u32 s23, s65, s42
	s_add_u32 s4, s4, s5
	s_mul_i32 s5, s68, s63
	s_addc_u32 s20, s20, s23
	s_mul_hi_u32 s23, s68, s63
	s_add_u32 s4, s4, s5
	s_addc_u32 s20, s20, s23
	s_mul_i32 s23, s58, s50
	s_add_u32 s4, s4, s23
	s_mul_hi_u32 s23, s58, s50
	s_addc_u32 s20, s20, s23
	s_mul_i32 s23, s60, s37
	s_add_u32 s4, s4, s23
	s_mul_hi_u32 s23, s60, s37
	s_addc_u32 s20, s20, s23
	s_mul_i32 s23, s61, s36
	s_add_u32 s4, s4, s23
	s_addc_u32 s20, s20, s22
	s_add_u32 s2, s4, s2
	s_addc_u32 s3, s20, s3
	s_mul_i32 s4, s24, 0x3d10
	s_add_u32 s2, s2, s4
	s_mul_hi_u32 s4, s24, 0x3d10
	s_addc_u32 s3, s3, s4
	s_add_u32 s0, s2, s0
	s_mul_i32 s5, s19, s29
	s_mul_hi_u32 s23, s19, s28
	s_addc_u32 s1, s3, s1
	s_mul_hi_u32 s2, s61, s37
	s_mul_i32 s3, s71, s37
	s_mul_i32 s22, s19, s28
	s_mul_i32 s20, s70, s40
	s_add_i32 s26, s2, s3
	s_add_i32 s23, s23, s5
	s_and_b32 s4, s0, 0x3ffffff
	s_lshl_b64 s[2:3], s[24:25], 10
	s_lshr_b64 s[0:1], s[0:1], 26
	s_add_u32 s5, s20, s22
	s_mul_hi_u32 s20, s70, s40
	s_addc_u32 s20, s20, s23
	s_add_u32 s76, s5, s78
	s_addc_u32 s77, s20, s79
	s_mul_i32 s21, s56, s36
	s_mul_i32 s23, s62, s35
	s_and_b32 s24, s76, 0x3ffffff
	s_lshr_b64 s[76:77], s[76:77], 26
	s_mul_hi_u32 s5, s56, s36
	s_add_u32 s21, s23, s21
	s_mul_hi_u32 s23, s62, s35
	s_addc_u32 s5, s23, s5
	s_mul_i32 s23, s65, s43
	s_add_u32 s21, s21, s23
	s_mul_hi_u32 s23, s65, s43
	s_addc_u32 s5, s5, s23
	s_mul_i32 s23, s68, s42
	;; [unrolled: 4-line block ×6, first 2 shown]
	s_add_u32 s21, s21, s23
	s_addc_u32 s5, s5, s26
	s_add_u32 s2, s21, s2
	s_mul_i32 s20, s56, s37
	s_mul_hi_u32 s22, s56, s37
	s_addc_u32 s3, s5, s3
	s_mul_i32 s56, s24, 0x3d10
	s_add_u32 s2, s2, s56
	s_mul_hi_u32 s56, s24, 0x3d10
	s_addc_u32 s3, s3, s56
	s_add_u32 s0, s2, s0
	s_mul_i32 s26, s70, s29
	s_mul_hi_u32 s5, s70, s28
	s_addc_u32 s1, s3, s1
	s_mul_hi_u32 s2, s61, s50
	s_mul_i32 s71, s71, s50
	s_mul_i32 s21, s70, s28
	s_add_i32 s56, s2, s71
	s_add_i32 s5, s5, s26
	s_and_b32 s26, s0, 0x3ffffff
	s_lshl_b64 s[70:71], s[24:25], 10
	s_lshr_b64 s[78:79], s[0:1], 26
	s_add_u32 s2, s76, s21
	s_addc_u32 s3, s77, s5
	s_mul_i32 s23, s62, s36
	s_and_b32 s24, s2, 0x3ffffff
	s_lshr_b64 s[0:1], s[2:3], 26
	s_mul_hi_u32 s27, s62, s36
	s_add_u32 s2, s23, s20
	s_mul_i32 s5, s65, s35
	s_addc_u32 s22, s27, s22
	s_mul_hi_u32 s21, s65, s35
	s_add_u32 s2, s2, s5
	s_mul_i32 s20, s68, s43
	s_addc_u32 s21, s22, s21
	;; [unrolled: 4-line block ×5, first 2 shown]
	s_mul_hi_u32 s58, s58, s40
	s_add_u32 s2, s2, s22
	s_mul_hi_u32 s20, s60, s51
	s_mul_i32 s60, s60, s51
	s_addc_u32 s19, s19, s58
	s_add_u32 s2, s2, s60
	s_mul_i32 s61, s61, s50
	s_addc_u32 s19, s19, s20
	s_add_u32 s2, s2, s61
	s_addc_u32 s19, s19, s56
	s_add_u32 s2, s2, s70
	s_mul_i32 s27, s24, 0x3d10
	s_addc_u32 s19, s19, s71
	s_mul_hi_u32 s23, s24, 0x3d10
	s_add_u32 s2, s2, s27
	s_addc_u32 s19, s19, s23
	s_add_u32 s58, s2, s78
	s_addc_u32 s59, s19, s79
	s_lshr_b32 s20, s3, 26
	s_mul_hi_u32 s62, s0, 0x3d10
	s_mulk_i32 s20, 0x3d10
	s_mul_i32 s5, s0, 0x3d10
	s_and_b32 s19, s58, 0x3ffffff
	s_lshl_b64 s[60:61], s[24:25], 10
	s_lshr_b64 s[2:3], s[58:59], 26
	s_add_i32 s62, s62, s20
	s_add_u32 s5, s5, s66
	s_addc_u32 s20, s62, 0
	s_add_u32 s5, s5, s60
	s_addc_u32 s20, s20, s61
	;; [unrolled: 2-line block ×3, first 2 shown]
	s_and_b32 s5, s2, 0x3fffff
	s_lshl_b64 s[0:1], s[0:1], 14
	s_lshr_b64 s[2:3], s[2:3], 22
	s_add_u32 s0, s2, s0
	s_addc_u32 s1, s3, s1
	s_mul_hi_u32 s2, s0, 0x3d1
	s_mul_i32 s20, s1, 0x3d1
	s_mul_i32 s3, s0, 0x3d1
	s_add_i32 s20, s2, s20
	s_add_u32 s2, s3, s69
	s_addc_u32 s3, s20, 0
	s_and_b32 s20, s2, 0x3ffffff
	s_lshl_b64 s[0:1], s[0:1], 6
	s_lshr_b64 s[2:3], s[2:3], 26
	s_add_u32 s0, s0, s72
	s_addc_u32 s1, s1, 0
	s_add_u32 s0, s0, s2
	s_addc_u32 s1, s1, s3
	v_writelane_b32 v15, s47, 6
	s_and_b32 s2, s0, 0x3ffffff
	s_sub_i32 s3, s55, s8
	s_lshr_b64 s[0:1], s[0:1], 26
	v_writelane_b32 v15, s90, 9
	s_sub_i32 vcc_hi, s16, s31
	s_sub_i32 s82, s73, s39
	s_sub_i32 s83, s67, s64
	s_add_i32 s16, s3, 0xffff0bc
	s_add_i32 s3, s0, s74
	v_writelane_b32 v15, s46, 10
	s_sub_i32 s79, s20, s47
	s_sub_i32 s85, s57, s30
	;; [unrolled: 1-line block ×4, first 2 shown]
	s_add_i32 s82, s82, 0xffffffc
	s_add_i32 s83, s83, 0xffffffc
	s_mov_b64 s[46:47], s[94:95]
	s_sub_i32 s95, s3, s45
	s_sub_i32 s21, s33, s10
	;; [unrolled: 1-line block ×12, first 2 shown]
	s_add_i32 s79, s79, 0xffff0bc
	s_add_i32 s85, s85, 0xffffffc
	;; [unrolled: 1-line block ×4, first 2 shown]
	s_lshl_b32 s54, s82, 1
	s_lshl_b32 s0, s83, 1
	s_add_i32 s95, s95, 0xffffffc
	s_add_i32 s17, s21, 0xffffefc
	;; [unrolled: 1-line block ×5, first 2 shown]
	s_add_i32 vcc_hi, vcc_hi, 0xffffffc
	s_add_i32 s58, s58, 0xffffffc
	s_add_i32 s59, s59, 0xffffffc
	;; [unrolled: 1-line block ×7, first 2 shown]
	s_lshl_b32 s53, s79, 1
	s_lshl_b32 s66, s84, 1
	s_mul_i32 s7, s80, s54
	s_mul_i32 s22, s85, s0
	s_lshl_b32 s68, s95, 1
	s_mul_hi_u32 s6, s80, s54
	s_mul_hi_u32 s23, s85, s0
	s_add_u32 s7, s7, s22
	s_mul_i32 s24, s53, s87
	s_addc_u32 s6, s6, s23
	s_mul_hi_u32 s3, s53, s87
	s_add_u32 s7, s7, s24
	s_addc_u32 s3, s6, s3
	s_mul_i32 s6, s66, s86
	s_mul_hi_u32 s24, s66, s86
	s_add_u32 s6, s7, s6
	s_addc_u32 s3, s3, s24
	s_mul_i32 s24, s68, s81
	;; [unrolled: 4-line block ×3, first 2 shown]
	s_mul_i32 s26, s80, s0
	s_and_b32 s56, s6, 0x3ffffff
	s_lshr_b64 s[6:7], s[6:7], 26
	s_mul_hi_u32 s4, s85, s85
	s_mul_hi_u32 s27, s80, s0
	s_add_u32 s3, s26, s5
	s_mul_i32 s55, s81, s54
	s_addc_u32 s4, s27, s4
	s_mul_hi_u32 s22, s81, s54
	s_add_u32 s3, s3, s55
	s_mul_i32 s5, s66, s87
	s_addc_u32 s4, s4, s22
	;; [unrolled: 4-line block ×3, first 2 shown]
	s_mul_hi_u32 s5, s68, s86
	s_add_u32 s3, s3, s22
	s_addc_u32 s5, s4, s5
	s_add_u32 s4, s3, s6
	s_addc_u32 s5, s5, s7
	s_and_b32 s24, s4, 0x3ffffff
	s_mul_i32 s2, s79, s79
	s_lshr_b64 s[4:5], s[4:5], 26
	s_mul_i32 s6, s24, 0x3d10
	s_mul_hi_u32 s1, s79, s79
	s_mul_hi_u32 s3, s24, 0x3d10
	s_add_u32 s2, s6, s2
	s_addc_u32 s3, s3, s1
	s_lshl_b32 s1, s85, 1
	s_mul_i32 s23, s81, s0
	s_and_b32 s61, s2, 0x3ffffff
	s_lshl_b64 s[6:7], s[24:25], 10
	s_lshr_b64 s[2:3], s[2:3], 26
	s_mul_i32 s22, s80, s1
	s_mul_hi_u32 s57, s81, s0
	s_add_u32 s22, s23, s22
	s_mul_hi_u32 s23, s80, s1
	s_mul_i32 s26, s86, s54
	s_addc_u32 s23, s57, s23
	s_mul_hi_u32 s24, s86, s54
	s_add_u32 s22, s22, s26
	s_addc_u32 s23, s23, s24
	s_mul_i32 s24, s68, s87
	s_add_u32 s22, s22, s24
	s_mul_hi_u32 s24, s68, s87
	s_addc_u32 s23, s23, s24
	s_add_u32 s4, s22, s4
	s_addc_u32 s5, s23, s5
	s_mul_i32 s26, s84, s53
	s_and_b32 s24, s4, 0x3ffffff
	s_lshr_b64 s[4:5], s[4:5], 26
	s_mul_hi_u32 s22, s84, s53
	s_add_u32 s6, s6, s26
	s_addc_u32 s7, s7, s22
	s_add_u32 s2, s6, s2
	s_mul_i32 s26, s24, 0x3d10
	s_addc_u32 s3, s7, s3
	s_mul_hi_u32 s6, s24, 0x3d10
	s_add_u32 s2, s2, s26
	s_addc_u32 s3, s3, s6
	s_mul_i32 s20, s80, s80
	s_mul_i32 s22, s81, s1
	s_and_b32 s62, s2, 0x3ffffff
	s_lshl_b64 s[6:7], s[24:25], 10
	s_lshr_b64 s[2:3], s[2:3], 26
	s_mul_hi_u32 s21, s80, s80
	s_add_u32 s20, s22, s20
	s_mul_hi_u32 s22, s81, s1
	s_mul_i32 s23, s86, s0
	s_addc_u32 s21, s22, s21
	s_mul_hi_u32 s27, s86, s0
	s_add_u32 s20, s20, s23
	s_mul_i32 s22, s87, s54
	s_addc_u32 s21, s21, s27
	s_mul_hi_u32 s23, s87, s54
	s_add_u32 s20, s20, s22
	s_addc_u32 s21, s21, s23
	s_add_u32 s4, s20, s4
	s_addc_u32 s5, s21, s5
	s_mul_i32 s26, s84, s84
	s_mul_i32 s20, s95, s53
	s_and_b32 s24, s4, 0x3ffffff
	s_lshr_b64 s[4:5], s[4:5], 26
	s_mul_hi_u32 s22, s84, s84
	s_mul_hi_u32 s21, s95, s53
	s_add_u32 s20, s20, s26
	s_addc_u32 s21, s21, s22
	s_add_u32 s6, s20, s6
	s_mul_i32 s22, s24, 0x3d10
	s_addc_u32 s7, s21, s7
	s_mul_hi_u32 s20, s24, 0x3d10
	s_add_u32 s6, s6, s22
	s_addc_u32 s7, s7, s20
	s_add_u32 s2, s6, s2
	s_addc_u32 s3, s7, s3
	s_lshl_b32 s20, s80, 1
	s_mul_i32 s23, s86, s1
	s_and_b32 s65, s2, 0x3ffffff
	s_lshl_b64 s[6:7], s[24:25], 10
	s_lshr_b64 s[2:3], s[2:3], 26
	s_mul_i32 s21, s81, s20
	s_mul_hi_u32 s26, s86, s1
	s_add_u32 s21, s23, s21
	s_mul_hi_u32 s22, s81, s20
	s_addc_u32 s22, s26, s22
	s_mul_i32 s23, s87, s0
	s_add_u32 s21, s21, s23
	s_mul_hi_u32 s0, s87, s0
	s_addc_u32 s0, s22, s0
	s_add_u32 s4, s21, s4
	s_addc_u32 s5, s0, s5
	s_mul_i32 s0, s53, s82
	s_mul_i32 s22, s95, s66
	s_and_b32 s24, s4, 0x3ffffff
	s_lshr_b64 s[4:5], s[4:5], 26
	s_mul_hi_u32 s21, s53, s82
	s_add_u32 s0, s22, s0
	s_mul_hi_u32 s22, s95, s66
	s_addc_u32 s21, s22, s21
	s_add_u32 s0, s0, s6
	s_addc_u32 s6, s21, s7
	s_mul_i32 s7, s24, 0x3d10
	s_add_u32 s0, s0, s7
	s_mul_hi_u32 s7, s24, 0x3d10
	s_addc_u32 s6, s6, s7
	s_add_u32 s2, s0, s2
	s_addc_u32 s3, s6, s3
	s_mul_i32 s23, s81, s81
	s_mul_i32 s21, s86, s20
	s_and_b32 s0, s2, 0x3ffffff
	s_lshl_b64 s[6:7], s[24:25], 10
	s_lshr_b64 s[2:3], s[2:3], 26
	s_mul_hi_u32 s22, s81, s81
	v_writelane_b32 v15, s0, 11
	s_add_u32 s0, s21, s23
	s_mul_hi_u32 s21, s86, s20
	s_addc_u32 s21, s21, s22
	s_mul_i32 s22, s87, s1
	s_add_u32 s0, s0, s22
	s_mul_hi_u32 s1, s87, s1
	s_addc_u32 s1, s21, s1
	s_add_u32 s0, s0, s4
	s_addc_u32 s1, s1, s5
	s_mul_i32 s22, s53, s83
	s_mul_i32 s21, s95, s95
	s_and_b32 s24, s0, 0x3ffffff
	s_lshr_b64 s[0:1], s[0:1], 26
	s_mul_hi_u32 s4, s53, s83
	s_add_u32 s21, s21, s22
	s_mul_hi_u32 s22, s95, s95
	s_mul_i32 s5, s66, s82
	s_addc_u32 s4, s22, s4
	s_mul_hi_u32 s22, s66, s82
	s_add_u32 s5, s21, s5
	s_addc_u32 s4, s4, s22
	s_add_u32 s5, s5, s6
	s_mul_i32 s22, s24, 0x3d10
	s_addc_u32 s4, s4, s7
	s_mul_hi_u32 s6, s24, 0x3d10
	s_add_u32 s5, s5, s22
	s_addc_u32 s4, s4, s6
	s_add_u32 s2, s5, s2
	s_addc_u32 s3, s4, s3
	s_and_b32 s4, s2, 0x3ffffff
	s_lshl_b32 s6, s81, 1
	s_mul_i32 s21, s87, s20
	v_writelane_b32 v15, s4, 12
	s_lshl_b64 s[4:5], s[24:25], 10
	s_lshr_b64 s[2:3], s[2:3], 26
	s_mul_i32 s7, s86, s6
	s_mul_hi_u32 s20, s87, s20
	s_add_u32 s7, s21, s7
	s_mul_hi_u32 s21, s86, s6
	s_addc_u32 s20, s20, s21
	s_add_u32 s0, s7, s0
	s_addc_u32 s1, s20, s1
	s_mul_i32 s7, s53, s85
	s_mul_i32 s21, s66, s83
	s_and_b32 s24, s0, 0x3ffffff
	s_lshr_b64 s[0:1], s[0:1], 26
	s_mul_hi_u32 s20, s53, s85
	s_add_u32 s7, s21, s7
	s_mul_hi_u32 s21, s66, s83
	s_addc_u32 s20, s21, s20
	s_mul_i32 s21, s68, s82
	s_add_u32 s7, s7, s21
	s_mul_hi_u32 s21, s68, s82
	s_addc_u32 s20, s20, s21
	s_add_u32 s4, s7, s4
	s_addc_u32 s5, s20, s5
	s_mul_i32 s20, s24, 0x3d10
	s_add_u32 s4, s4, s20
	s_mul_hi_u32 s20, s24, 0x3d10
	s_addc_u32 s5, s5, s20
	s_add_u32 s2, s4, s2
	s_addc_u32 s3, s5, s3
	s_and_b32 s4, s2, 0x3ffffff
	s_mul_i32 s21, s86, s86
	s_mul_i32 s7, s87, s6
	v_writelane_b32 v15, s4, 4
	s_lshl_b64 s[4:5], s[24:25], 10
	s_lshr_b64 s[2:3], s[2:3], 26
	s_add_u32 s7, s7, s21
	s_mul_hi_u32 s20, s86, s86
	s_mul_hi_u32 s6, s87, s6
	s_addc_u32 s6, s6, s20
	s_add_u32 s0, s7, s0
	s_addc_u32 s1, s6, s1
	s_mul_i32 s6, s82, s82
	s_mul_i32 s20, s53, s80
	s_and_b32 s24, s0, 0x3ffffff
	s_lshr_b64 s[0:1], s[0:1], 26
	s_mul_hi_u32 s7, s82, s82
	s_add_u32 s6, s20, s6
	s_mul_hi_u32 s20, s53, s80
	s_addc_u32 s7, s20, s7
	s_mul_i32 s20, s66, s85
	s_add_u32 s6, s6, s20
	s_mul_hi_u32 s20, s66, s85
	s_addc_u32 s7, s7, s20
	s_mul_i32 s20, s68, s83
	s_add_u32 s6, s6, s20
	s_mul_hi_u32 s20, s68, s83
	s_addc_u32 s7, s7, s20
	s_add_u32 s4, s6, s4
	s_mul_i32 s20, s24, 0x3d10
	s_addc_u32 s5, s7, s5
	s_mul_hi_u32 s6, s24, 0x3d10
	s_add_u32 s4, s4, s20
	s_addc_u32 s5, s5, s6
	s_add_u32 s2, s4, s2
	s_addc_u32 s3, s5, s3
	s_and_b32 s4, s2, 0x3ffffff
	s_lshl_b32 s6, s86, 1
	v_writelane_b32 v15, s4, 5
	s_lshl_b64 s[4:5], s[24:25], 10
	s_lshr_b64 s[2:3], s[2:3], 26
	s_mul_hi_u32 s7, s6, s87
	s_mul_i32 s6, s6, s87
	s_add_u32 s0, s0, s6
	s_addc_u32 s1, s1, s7
	s_mul_i32 s6, s53, s81
	s_mul_i32 s7, s83, s54
	s_and_b32 s24, s0, 0x3ffffff
	s_lshr_b64 s[0:1], s[0:1], 26
	s_add_u32 s6, s6, s7
	s_mul_hi_u32 s7, s53, s81
	s_mul_hi_u32 s20, s83, s54
	s_addc_u32 s7, s7, s20
	s_mul_i32 s20, s66, s80
	s_add_u32 s6, s6, s20
	s_mul_hi_u32 s20, s66, s80
	s_addc_u32 s7, s7, s20
	s_mul_i32 s20, s68, s85
	s_add_u32 s6, s6, s20
	s_mul_hi_u32 s20, s68, s85
	s_addc_u32 s7, s7, s20
	s_add_u32 s4, s6, s4
	s_addc_u32 s5, s7, s5
	s_mul_i32 s6, s24, 0x3d10
	s_add_u32 s4, s4, s6
	s_mul_hi_u32 s6, s24, 0x3d10
	s_addc_u32 s5, s5, s6
	s_add_u32 s2, s4, s2
	s_addc_u32 s3, s5, s3
	s_mul_i32 s4, s87, s87
	s_and_b32 s5, s2, 0x3ffffff
	s_lshr_b64 s[2:3], s[2:3], 26
	s_lshl_b64 s[6:7], s[24:25], 10
	s_mul_hi_u32 s20, s87, s87
	s_add_u32 s4, s0, s4
	v_writelane_b32 v15, s5, 8
	s_addc_u32 s5, s1, s20
	s_mul_i32 s20, s83, s83
	s_and_b32 s24, s4, 0x3ffffff
	s_mul_i32 s21, s85, s54
	s_lshr_b64 s[0:1], s[4:5], 26
	s_add_u32 s4, s21, s20
	s_mul_hi_u32 s20, s85, s54
	s_mul_hi_u32 s21, s83, s83
	s_addc_u32 s20, s20, s21
	s_mul_i32 s21, s53, s86
	s_add_u32 s4, s4, s21
	s_mul_hi_u32 s21, s53, s86
	s_addc_u32 s20, s20, s21
	s_mul_i32 s21, s66, s81
	s_add_u32 s4, s4, s21
	;; [unrolled: 4-line block ×3, first 2 shown]
	s_mul_hi_u32 s21, s68, s80
	s_addc_u32 s20, s20, s21
	s_add_u32 s4, s4, s6
	s_addc_u32 s6, s20, s7
	s_mul_i32 s7, s24, 0x3d10
	s_mul_hi_u32 s20, s24, 0x3d10
	s_add_u32 s4, s4, s7
	s_addc_u32 s6, s6, s20
	s_add_u32 s2, s4, s2
	s_addc_u32 s3, s6, s3
	s_lshr_b32 s20, s5, 26
	s_mul_hi_u32 s7, s0, 0x3d10
	s_mulk_i32 s20, 0x3d10
	s_mul_i32 s6, s0, 0x3d10
	s_and_b32 s55, s2, 0x3ffffff
	s_lshl_b64 s[4:5], s[24:25], 10
	s_lshr_b64 s[2:3], s[2:3], 26
	s_add_i32 s7, s7, s20
	s_add_u32 s6, s6, s56
	s_addc_u32 s7, s7, 0
	s_add_u32 s4, s6, s4
	s_addc_u32 s5, s7, s5
	;; [unrolled: 2-line block ×3, first 2 shown]
	s_lshl_b64 s[0:1], s[0:1], 14
	s_and_b32 s54, s2, 0x3fffff
	s_lshr_b64 s[2:3], s[2:3], 22
	s_add_u32 s0, s2, s0
	s_addc_u32 s1, s3, s1
	s_mul_hi_u32 s2, s0, 0x3d1
	s_mul_i32 s4, s1, 0x3d1
	s_mul_i32 s3, s0, 0x3d1
	s_add_i32 s4, s2, s4
	s_add_u32 s2, s3, s61
	s_addc_u32 s3, s4, 0
	s_lshl_b64 s[0:1], s[0:1], 6
	s_and_b32 s53, s2, 0x3ffffff
	s_lshr_b64 s[2:3], s[2:3], 26
	s_add_u32 s0, s0, s62
	s_addc_u32 s1, s1, 0
	s_add_u32 s2, s0, s2
	s_addc_u32 s3, s1, s3
	s_and_b32 s68, s2, 0x3ffffff
	s_lshl_b32 s56, s19, 1
	s_lshl_b32 s20, s73, 1
	s_lshr_b64 s[2:3], s[2:3], 26
	s_lshl_b32 s7, s16, 1
	s_lshl_b32 s6, s17, 1
	s_lshl_b32 s0, s18, 1
	s_mul_i32 s1, s58, s56
	s_mul_i32 s3, vcc_hi, s20
	s_add_i32 s2, s2, s65
	v_writelane_b32 v15, s2, 13
	s_mul_hi_u32 s2, s58, s56
	s_mul_hi_u32 s4, vcc_hi, s20
	s_add_u32 s1, s1, s3
	s_mul_i32 s3, s7, s72
	s_addc_u32 s2, s2, s4
	s_mul_hi_u32 s4, s7, s72
	s_add_u32 s1, s1, s3
	s_mul_i32 s3, s6, s60
	s_addc_u32 s2, s2, s4
	s_mul_hi_u32 s4, s6, s60
	;; [unrolled: 4-line block ×3, first 2 shown]
	s_add_u32 s2, s1, s3
	s_addc_u32 s3, s4, s5
	s_mul_i32 s21, vcc_hi, vcc_hi
	s_mul_i32 s4, s58, s20
	s_and_b32 s1, s2, 0x3ffffff
	s_lshr_b64 s[2:3], s[2:3], 26
	s_add_u32 s4, s4, s21
	s_mul_hi_u32 s5, vcc_hi, vcc_hi
	s_mul_hi_u32 s21, s58, s20
	s_addc_u32 s5, s21, s5
	s_mul_i32 s21, s59, s56
	s_add_u32 s4, s4, s21
	s_mul_hi_u32 s21, s59, s56
	s_addc_u32 s5, s5, s21
	s_mul_i32 s21, s6, s72
	s_add_u32 s4, s4, s21
	;; [unrolled: 4-line block ×3, first 2 shown]
	s_mul_hi_u32 s21, s0, s60
	s_addc_u32 s5, s5, s21
	s_add_u32 s2, s4, s2
	s_addc_u32 s3, s5, s3
	s_and_b32 s24, s2, 0x3ffffff
	s_mul_i32 s4, s16, s16
	s_lshr_b64 s[2:3], s[2:3], 26
	s_mul_i32 s5, s24, 0x3d10
	s_add_u32 s4, s5, s4
	s_mul_hi_u32 s5, s16, s16
	s_mul_hi_u32 s21, s24, 0x3d10
	s_addc_u32 s5, s21, s5
	s_lshl_b32 s22, vcc_hi, 1
	s_and_b32 s57, s4, 0x3ffffff
	s_lshr_b64 s[4:5], s[4:5], 26
	s_mul_i32 s21, s59, s20
	s_mul_i32 s23, s58, s22
	s_lshl_b64 s[66:67], s[24:25], 10
	s_add_u32 s21, s21, s23
	s_mul_hi_u32 s23, s59, s20
	s_mul_hi_u32 s24, s58, s22
	s_addc_u32 s23, s23, s24
	s_mul_i32 s24, s60, s56
	s_add_u32 s21, s21, s24
	s_mul_hi_u32 s24, s60, s56
	s_addc_u32 s23, s23, s24
	s_mul_i32 s24, s0, s72
	s_add_u32 s21, s21, s24
	s_mul_hi_u32 s24, s0, s72
	s_addc_u32 s23, s23, s24
	s_add_u32 s2, s21, s2
	s_addc_u32 s3, s23, s3
	s_and_b32 s24, s2, 0x3ffffff
	s_lshr_b64 s[2:3], s[2:3], 26
	s_mul_i32 s21, s17, s7
	s_add_u32 s21, s66, s21
	s_mul_hi_u32 s23, s17, s7
	s_addc_u32 s23, s67, s23
	s_add_u32 s4, s21, s4
	s_addc_u32 s5, s23, s5
	s_mul_i32 s21, s24, 0x3d10
	s_add_u32 s4, s4, s21
	s_mul_hi_u32 s21, s24, 0x3d10
	s_addc_u32 s5, s5, s21
	s_and_b32 s65, s4, 0x3ffffff
	s_lshr_b64 s[4:5], s[4:5], 26
	s_mul_i32 s21, s58, s58
	s_mul_i32 s23, s59, s22
	s_lshl_b64 s[66:67], s[24:25], 10
	s_add_u32 s21, s23, s21
	s_mul_hi_u32 s23, s58, s58
	s_mul_hi_u32 s24, s59, s22
	s_addc_u32 s23, s24, s23
	s_mul_i32 s24, s60, s20
	s_add_u32 s21, s21, s24
	s_mul_hi_u32 s24, s60, s20
	s_addc_u32 s23, s23, s24
	s_mul_i32 s24, s72, s56
	s_add_u32 s21, s21, s24
	s_mul_hi_u32 s24, s72, s56
	s_addc_u32 s23, s23, s24
	s_add_u32 s2, s21, s2
	s_addc_u32 s3, s23, s3
	s_and_b32 s24, s2, 0x3ffffff
	s_lshr_b64 s[2:3], s[2:3], 26
	s_mul_i32 s21, s17, s17
	s_mul_i32 s23, s18, s7
	s_add_u32 s21, s23, s21
	s_mul_hi_u32 s23, s17, s17
	s_mul_hi_u32 s26, s18, s7
	s_addc_u32 s23, s26, s23
	s_add_u32 s21, s21, s66
	s_addc_u32 s23, s23, s67
	s_mul_i32 s26, s24, 0x3d10
	s_add_u32 s21, s21, s26
	s_mul_hi_u32 s26, s24, 0x3d10
	s_addc_u32 s23, s23, s26
	s_add_u32 s4, s21, s4
	s_addc_u32 s5, s23, s5
	s_lshl_b32 s23, s58, 1
	s_and_b32 s66, s4, 0x3ffffff
	s_lshr_b64 s[4:5], s[4:5], 26
	s_mul_i32 s21, s60, s22
	s_mul_i32 s26, s59, s23
	s_lshl_b64 s[70:71], s[24:25], 10
	s_add_u32 s21, s21, s26
	s_mul_hi_u32 s24, s60, s22
	s_mul_hi_u32 s26, s59, s23
	s_addc_u32 s24, s24, s26
	s_mul_i32 s26, s72, s20
	s_add_u32 s21, s21, s26
	s_mul_hi_u32 s20, s72, s20
	s_addc_u32 s20, s24, s20
	s_add_u32 s2, s21, s2
	s_addc_u32 s3, s20, s3
	s_and_b32 s24, s2, 0x3ffffff
	s_lshr_b64 s[74:75], s[2:3], 26
	s_mul_i32 s2, s7, s19
	s_mul_i32 s3, s18, s6
	s_add_u32 s2, s3, s2
	s_mul_hi_u32 s3, s7, s19
	s_mul_hi_u32 s20, s18, s6
	s_addc_u32 s3, s20, s3
	s_add_u32 s2, s2, s70
	s_addc_u32 s3, s3, s71
	s_mul_i32 s20, s24, 0x3d10
	s_add_u32 s2, s2, s20
	s_mul_hi_u32 s20, s24, 0x3d10
	s_addc_u32 s3, s3, s20
	s_add_u32 s4, s2, s4
	s_addc_u32 s5, s3, s5
	s_and_b32 s2, s4, 0x3ffffff
	s_lshr_b64 s[4:5], s[4:5], 26
	s_mul_i32 s3, s59, s59
	s_mul_i32 s20, s60, s23
	s_lshl_b64 s[70:71], s[24:25], 10
	s_add_u32 s3, s20, s3
	s_mul_hi_u32 s20, s59, s59
	s_mul_hi_u32 s21, s60, s23
	s_addc_u32 s20, s21, s20
	s_mul_i32 s21, s72, s22
	s_add_u32 s3, s3, s21
	s_mul_hi_u32 s21, s72, s22
	s_addc_u32 s20, s20, s21
	s_add_u32 s74, s3, s74
	s_addc_u32 s75, s20, s75
	s_and_b32 s24, s74, 0x3ffffff
	s_lshr_b64 s[74:75], s[74:75], 26
	s_mul_i32 s3, s18, s18
	s_mul_i32 s20, s7, s73
	s_add_u32 s3, s3, s20
	s_mul_hi_u32 s20, s18, s18
	s_mul_hi_u32 s21, s7, s73
	s_addc_u32 s20, s20, s21
	s_mul_i32 s21, s6, s19
	s_add_u32 s3, s3, s21
	s_mul_hi_u32 s21, s6, s19
	s_addc_u32 s20, s20, s21
	s_add_u32 s3, s3, s70
	s_addc_u32 s20, s20, s71
	s_mul_i32 s21, s24, 0x3d10
	s_add_u32 s3, s3, s21
	s_mul_hi_u32 s21, s24, 0x3d10
	s_addc_u32 s20, s20, s21
	s_add_u32 s4, s3, s4
	s_addc_u32 s5, s20, s5
	s_lshl_b32 s21, s59, 1
	s_and_b32 s3, s4, 0x3ffffff
	s_lshr_b64 s[4:5], s[4:5], 26
	s_mul_i32 s20, s72, s23
	s_mul_i32 s22, s60, s21
	s_lshl_b64 s[70:71], s[24:25], 10
	s_add_u32 s20, s20, s22
	s_mul_hi_u32 s22, s72, s23
	s_mul_hi_u32 s23, s60, s21
	s_addc_u32 s22, s22, s23
	s_add_u32 s74, s20, s74
	s_addc_u32 s75, s22, s75
	s_and_b32 s24, s74, 0x3ffffff
	s_lshr_b64 s[74:75], s[74:75], 26
	s_mul_i32 s20, s7, vcc_hi
	s_mul_i32 s22, s6, s73
	s_add_u32 s20, s22, s20
	s_mul_hi_u32 s22, s7, vcc_hi
	s_mul_hi_u32 s23, s6, s73
	s_addc_u32 s22, s23, s22
	s_mul_i32 s23, s0, s19
	s_add_u32 s20, s20, s23
	s_mul_hi_u32 s23, s0, s19
	s_addc_u32 s22, s22, s23
	s_add_u32 s20, s20, s70
	s_addc_u32 s22, s22, s71
	s_mul_i32 s23, s24, 0x3d10
	s_add_u32 s20, s20, s23
	s_mul_hi_u32 s23, s24, 0x3d10
	s_addc_u32 s22, s22, s23
	s_add_u32 s70, s20, s4
	s_addc_u32 s71, s22, s5
	s_and_b32 s4, s70, 0x3ffffff
	s_lshr_b64 s[70:71], s[70:71], 26
	s_mul_i32 s5, s60, s60
	s_mul_i32 s20, s72, s21
	s_lshl_b64 s[76:77], s[24:25], 10
	s_add_u32 s5, s20, s5
	s_mul_hi_u32 s20, s72, s21
	s_mul_hi_u32 s21, s60, s60
	s_addc_u32 s20, s20, s21
	s_add_u32 s74, s5, s74
	s_addc_u32 s75, s20, s75
	s_and_b32 s24, s74, 0x3ffffff
	s_lshr_b64 s[74:75], s[74:75], 26
	s_mul_i32 s5, s19, s19
	s_mul_i32 s20, s7, s58
	s_add_u32 s5, s20, s5
	s_mul_hi_u32 s20, s19, s19
	s_mul_hi_u32 s21, s7, s58
	s_addc_u32 s20, s21, s20
	s_mul_i32 s21, s6, vcc_hi
	s_add_u32 s5, s5, s21
	s_mul_hi_u32 s21, s6, vcc_hi
	s_addc_u32 s20, s20, s21
	s_mul_i32 s21, s0, s73
	s_add_u32 s5, s5, s21
	s_mul_hi_u32 s21, s0, s73
	s_addc_u32 s20, s20, s21
	s_add_u32 s5, s5, s76
	s_addc_u32 s20, s20, s77
	s_mul_i32 s21, s24, 0x3d10
	s_add_u32 s5, s5, s21
	s_mul_hi_u32 s21, s24, 0x3d10
	s_addc_u32 s20, s20, s21
	s_add_u32 s70, s5, s70
	s_addc_u32 s71, s20, s71
	s_lshl_b32 s20, s60, 1
	s_and_b32 s5, s70, 0x3ffffff
	s_lshr_b64 s[70:71], s[70:71], 26
	s_mul_hi_u32 s21, s20, s72
	s_mul_i32 s20, s20, s72
	s_lshl_b64 s[76:77], s[24:25], 10
	s_add_u32 s74, s74, s20
	s_addc_u32 s75, s75, s21
	s_and_b32 s24, s74, 0x3ffffff
	s_lshr_b64 s[74:75], s[74:75], 26
	s_mul_i32 s20, s7, s59
	s_mul_i32 s21, s73, s56
	s_add_u32 s20, s20, s21
	s_mul_hi_u32 s21, s7, s59
	s_mul_hi_u32 s22, s73, s56
	s_addc_u32 s21, s21, s22
	s_mul_i32 s22, s6, s58
	s_add_u32 s20, s20, s22
	s_mul_hi_u32 s22, s6, s58
	s_addc_u32 s21, s21, s22
	s_mul_i32 s22, s0, vcc_hi
	s_add_u32 s20, s20, s22
	s_mul_hi_u32 s22, s0, vcc_hi
	s_addc_u32 s21, s21, s22
	s_add_u32 s20, s20, s76
	s_addc_u32 s21, s21, s77
	s_mul_i32 s22, s24, 0x3d10
	s_add_u32 s20, s20, s22
	s_mul_hi_u32 s22, s24, 0x3d10
	s_addc_u32 s21, s21, s22
	s_add_u32 s70, s20, s70
	s_addc_u32 s71, s21, s71
	s_and_b32 s61, s70, 0x3ffffff
	s_lshr_b64 s[70:71], s[70:71], 26
	s_mul_i32 s21, s72, s72
	s_lshl_b64 s[76:77], s[24:25], 10
	s_mul_hi_u32 s20, s72, s72
	s_add_u32 s74, s74, s21
	s_addc_u32 s75, s75, s20
	s_and_b32 s24, s74, 0x3ffffff
	s_mul_i32 s20, s73, s73
	s_mul_i32 s21, vcc_hi, s56
	s_lshr_b64 s[88:89], s[74:75], 26
	s_add_u32 s20, s21, s20
	s_mul_hi_u32 s21, vcc_hi, s56
	s_mul_hi_u32 s22, s73, s73
	s_addc_u32 s21, s21, s22
	s_mul_i32 s22, s7, s60
	s_add_u32 s20, s20, s22
	s_mul_hi_u32 s7, s7, s60
	s_addc_u32 s7, s21, s7
	s_mul_i32 s21, s6, s59
	s_add_u32 s20, s20, s21
	;; [unrolled: 4-line block ×3, first 2 shown]
	s_mul_hi_u32 s0, s0, s58
	s_addc_u32 s0, s6, s0
	s_add_u32 s6, s7, s76
	s_addc_u32 s0, s0, s77
	s_mul_i32 s7, s24, 0x3d10
	s_add_u32 s6, s6, s7
	s_mul_hi_u32 s7, s24, 0x3d10
	s_addc_u32 s0, s0, s7
	s_add_u32 s6, s6, s70
	s_addc_u32 s7, s0, s71
	s_lshr_b32 s0, s75, 26
	s_mulk_i32 s0, 0x3d10
	s_mul_hi_u32 s20, s88, 0x3d10
	s_add_i32 s20, s20, s0
	s_and_b32 s62, s6, 0x3ffffff
	s_lshr_b64 s[6:7], s[6:7], 26
	s_mul_i32 s0, s88, 0x3d10
	s_lshl_b64 s[70:71], s[24:25], 10
	s_add_u32 s0, s0, s1
	s_addc_u32 s1, s20, 0
	s_add_u32 s0, s0, s70
	s_addc_u32 s1, s1, s71
	;; [unrolled: 2-line block ×3, first 2 shown]
	s_lshl_b64 s[70:71], s[88:89], 14
	s_and_b32 s0, s6, 0x3fffff
	s_lshr_b64 s[6:7], s[6:7], 22
	s_add_u32 s6, s6, s70
	s_addc_u32 s7, s7, s71
	s_mul_hi_u32 s1, s6, 0x3d1
	s_mul_i32 s20, s7, 0x3d1
	s_add_i32 s1, s1, s20
	s_mul_i32 s20, s6, 0x3d1
	s_add_u32 s70, s20, s57
	s_addc_u32 s71, s1, 0
	s_lshl_b64 s[6:7], s[6:7], 6
	s_and_b32 s56, s70, 0x3ffffff
	s_lshr_b64 s[70:71], s[70:71], 26
	s_add_u32 s1, s6, s65
	s_addc_u32 s7, s7, 0
	s_add_u32 s6, s1, s70
	s_addc_u32 s7, s7, s71
	s_and_b32 s65, s6, 0x3ffffff
	s_lshr_b64 s[6:7], s[6:7], 26
	s_add_u32 s66, s6, s66
	s_addc_u32 s1, s7, 0
	s_mul_hi_u32 s6, s66, s59
	s_mul_i32 s7, s1, s59
	s_add_i32 s6, s6, s7
	s_mul_i32 s7, s2, s58
	s_mul_i32 s20, s3, vcc_hi
	s_add_u32 s7, s20, s7
	s_mul_hi_u32 s20, s2, s58
	s_mul_hi_u32 s21, s3, vcc_hi
	s_addc_u32 s20, s21, s20
	s_mul_i32 s21, s4, s73
	s_add_u32 s7, s7, s21
	s_mul_hi_u32 s21, s4, s73
	s_addc_u32 s20, s20, s21
	s_mul_i32 s21, s5, s19
	s_add_u32 s7, s7, s21
	s_mul_hi_u32 s21, s5, s19
	;; [unrolled: 4-line block ×7, first 2 shown]
	s_addc_u32 s20, s20, s21
	s_mul_i32 s21, s66, s59
	s_add_u32 s70, s7, s21
	s_addc_u32 s71, s20, s6
	s_mul_hi_u32 s6, s66, s60
	s_mul_i32 s7, s1, s60
	s_add_i32 s7, s6, s7
	s_and_b32 s6, s70, 0x3ffffff
	s_lshr_b64 s[70:71], s[70:71], 26
	s_mul_i32 s20, s2, s59
	s_mul_i32 s21, s3, s58
	s_add_u32 s20, s21, s20
	s_mul_hi_u32 s21, s2, s59
	s_mul_hi_u32 s22, s3, s58
	s_addc_u32 s21, s22, s21
	s_mul_i32 s22, s4, vcc_hi
	s_add_u32 s20, s20, s22
	s_mul_hi_u32 s22, s4, vcc_hi
	s_addc_u32 s21, s21, s22
	s_mul_i32 s22, s5, s73
	s_add_u32 s20, s20, s22
	s_mul_hi_u32 s22, s5, s73
	s_addc_u32 s21, s21, s22
	s_mul_i32 s22, s61, s19
	s_add_u32 s20, s20, s22
	s_mul_hi_u32 s22, s61, s19
	;; [unrolled: 4-line block ×5, first 2 shown]
	s_addc_u32 s21, s21, s22
	s_mul_i32 s22, s66, s60
	s_add_u32 s20, s20, s22
	s_addc_u32 s7, s21, s7
	s_add_u32 s70, s20, s70
	s_addc_u32 s71, s7, s71
	s_and_b32 s24, s70, 0x3ffffff
	s_lshr_b64 s[70:71], s[70:71], 26
	s_mul_i32 s7, s56, s16
	s_mul_i32 s20, s24, 0x3d10
	s_add_u32 s74, s20, s7
	s_mul_hi_u32 s7, s56, s16
	s_mul_hi_u32 s20, s24, 0x3d10
	s_addc_u32 s75, s20, s7
	s_mul_hi_u32 s7, s66, s72
	s_mul_i32 s20, s1, s72
	s_add_i32 s20, s7, s20
	s_and_b32 s7, s74, 0x3ffffff
	s_lshr_b64 s[74:75], s[74:75], 26
	s_mul_i32 s21, s2, s60
	s_mul_i32 s22, s3, s59
	s_lshl_b64 s[76:77], s[24:25], 10
	s_add_u32 s21, s22, s21
	s_mul_hi_u32 s22, s2, s60
	s_mul_hi_u32 s23, s3, s59
	s_addc_u32 s22, s23, s22
	s_mul_i32 s23, s4, s58
	s_add_u32 s21, s21, s23
	s_mul_hi_u32 s23, s4, s58
	s_addc_u32 s22, s22, s23
	s_mul_i32 s23, s5, vcc_hi
	s_add_u32 s21, s21, s23
	s_mul_hi_u32 s23, s5, vcc_hi
	s_addc_u32 s22, s22, s23
	s_mul_i32 s23, s61, s73
	s_add_u32 s21, s21, s23
	s_mul_hi_u32 s23, s61, s73
	s_addc_u32 s22, s22, s23
	s_mul_i32 s23, s62, s19
	s_add_u32 s21, s21, s23
	s_mul_hi_u32 s23, s62, s19
	;; [unrolled: 4-line block ×3, first 2 shown]
	s_addc_u32 s22, s22, s23
	s_mul_i32 s23, s66, s72
	s_add_u32 s21, s21, s23
	s_addc_u32 s20, s22, s20
	s_add_u32 s70, s21, s70
	s_addc_u32 s71, s20, s71
	s_and_b32 s24, s70, 0x3ffffff
	s_lshr_b64 s[70:71], s[70:71], 26
	s_mul_i32 s20, s56, s17
	s_mul_i32 s21, s65, s16
	s_add_u32 s20, s21, s20
	s_mul_hi_u32 s21, s56, s17
	s_mul_hi_u32 s22, s65, s16
	s_addc_u32 s21, s22, s21
	s_add_u32 s20, s20, s76
	s_addc_u32 s21, s21, s77
	s_add_u32 s20, s20, s74
	s_addc_u32 s21, s21, s75
	s_mul_i32 s22, s24, 0x3d10
	s_add_u32 s74, s20, s22
	s_mul_hi_u32 s20, s24, 0x3d10
	s_addc_u32 s75, s21, s20
	s_mul_hi_u32 s20, s66, s16
	s_mul_i32 s21, s1, s16
	s_add_i32 s20, s20, s21
	s_and_b32 s69, s74, 0x3ffffff
	s_lshr_b64 s[74:75], s[74:75], 26
	s_mul_i32 s21, s2, s72
	s_mul_i32 s22, s3, s60
	s_lshl_b64 s[76:77], s[24:25], 10
	s_add_u32 s21, s22, s21
	s_mul_hi_u32 s22, s2, s72
	s_mul_hi_u32 s23, s3, s60
	s_addc_u32 s22, s23, s22
	s_mul_i32 s23, s4, s59
	s_add_u32 s21, s21, s23
	s_mul_hi_u32 s23, s4, s59
	s_addc_u32 s22, s22, s23
	s_mul_i32 s23, s5, s58
	s_add_u32 s21, s21, s23
	s_mul_hi_u32 s23, s5, s58
	s_addc_u32 s22, s22, s23
	s_mul_i32 s23, s61, vcc_hi
	s_add_u32 s21, s21, s23
	s_mul_hi_u32 s23, s61, vcc_hi
	s_addc_u32 s22, s22, s23
	s_mul_i32 s23, s62, s73
	s_add_u32 s21, s21, s23
	s_mul_hi_u32 s23, s62, s73
	s_addc_u32 s22, s22, s23
	s_mul_i32 s23, s0, s19
	s_add_u32 s21, s21, s23
	s_mul_hi_u32 s23, s0, s19
	s_addc_u32 s22, s22, s23
	s_add_u32 s70, s21, s70
	s_addc_u32 s71, s22, s71
	s_and_b32 s24, s70, 0x3ffffff
	s_lshr_b64 s[70:71], s[70:71], 26
	s_mul_i32 s21, s56, s18
	s_mul_i32 s22, s65, s17
	s_add_u32 s21, s22, s21
	s_mul_hi_u32 s22, s56, s18
	s_mul_hi_u32 s23, s65, s17
	s_addc_u32 s22, s23, s22
	s_mul_i32 s23, s66, s16
	s_add_u32 s21, s21, s23
	s_addc_u32 s20, s22, s20
	s_add_u32 s21, s21, s76
	s_addc_u32 s20, s20, s77
	s_mul_i32 s22, s24, 0x3d10
	s_add_u32 s21, s21, s22
	s_mul_hi_u32 s22, s24, 0x3d10
	s_addc_u32 s20, s20, s22
	s_add_u32 s74, s21, s74
	s_addc_u32 s75, s20, s75
	s_mul_hi_u32 s20, s66, s17
	s_mul_i32 s21, s1, s17
	s_add_i32 s20, s20, s21
	s_and_b32 s67, s74, 0x3ffffff
	s_lshr_b64 s[74:75], s[74:75], 26
	s_mul_i32 s21, s3, s72
	s_mul_i32 s22, s4, s60
	s_lshl_b64 s[76:77], s[24:25], 10
	s_add_u32 s21, s22, s21
	s_mul_hi_u32 s22, s3, s72
	s_mul_hi_u32 s23, s4, s60
	s_addc_u32 s22, s23, s22
	s_mul_i32 s23, s5, s59
	s_add_u32 s21, s21, s23
	s_mul_hi_u32 s23, s5, s59
	s_addc_u32 s22, s22, s23
	s_mul_i32 s23, s61, s58
	s_add_u32 s21, s21, s23
	s_mul_hi_u32 s23, s61, s58
	s_addc_u32 s22, s22, s23
	s_mul_i32 s23, s62, vcc_hi
	s_add_u32 s21, s21, s23
	s_mul_hi_u32 s23, s62, vcc_hi
	s_addc_u32 s22, s22, s23
	s_mul_i32 s23, s0, s73
	s_add_u32 s21, s21, s23
	s_mul_hi_u32 s23, s0, s73
	s_addc_u32 s22, s22, s23
	s_add_u32 s70, s21, s70
	s_addc_u32 s71, s22, s71
	s_and_b32 s24, s70, 0x3ffffff
	s_lshr_b64 s[70:71], s[70:71], 26
	s_mul_i32 s21, s2, s16
	s_mul_i32 s22, s56, s19
	s_add_u32 s21, s22, s21
	s_mul_hi_u32 s22, s2, s16
	s_mul_hi_u32 s23, s56, s19
	s_addc_u32 s22, s23, s22
	s_mul_i32 s23, s65, s18
	s_add_u32 s21, s21, s23
	s_mul_hi_u32 s23, s65, s18
	s_addc_u32 s22, s22, s23
	s_mul_i32 s23, s66, s17
	s_add_u32 s21, s21, s23
	s_addc_u32 s20, s22, s20
	s_add_u32 s21, s21, s76
	s_addc_u32 s20, s20, s77
	s_mul_i32 s22, s24, 0x3d10
	s_add_u32 s21, s21, s22
	s_mul_hi_u32 s22, s24, 0x3d10
	s_addc_u32 s20, s20, s22
	s_add_u32 s76, s21, s74
	s_addc_u32 s77, s20, s75
	s_mul_hi_u32 s20, s66, s18
	s_mul_i32 s21, s1, s18
	s_add_i32 s20, s20, s21
	s_and_b32 s75, s76, 0x3ffffff
	s_lshr_b64 s[76:77], s[76:77], 26
	s_mul_i32 s21, s4, s72
	s_mul_i32 s22, s5, s60
	s_lshl_b64 s[88:89], s[24:25], 10
	s_add_u32 s21, s22, s21
	s_mul_hi_u32 s22, s4, s72
	s_mul_hi_u32 s23, s5, s60
	s_addc_u32 s22, s23, s22
	s_mul_i32 s23, s61, s59
	s_add_u32 s21, s21, s23
	s_mul_hi_u32 s23, s61, s59
	s_addc_u32 s22, s22, s23
	s_mul_i32 s23, s62, s58
	s_add_u32 s21, s21, s23
	s_mul_hi_u32 s23, s62, s58
	s_addc_u32 s22, s22, s23
	s_mul_i32 s23, s0, vcc_hi
	s_add_u32 s21, s21, s23
	s_mul_hi_u32 s23, s0, vcc_hi
	s_addc_u32 s22, s22, s23
	s_add_u32 s70, s21, s70
	s_addc_u32 s71, s22, s71
	s_and_b32 s24, s70, 0x3ffffff
	s_lshr_b64 s[70:71], s[70:71], 26
	s_mul_i32 s21, s2, s17
	s_mul_i32 s22, s3, s16
	s_add_u32 s21, s22, s21
	s_mul_hi_u32 s22, s2, s17
	s_mul_hi_u32 s23, s3, s16
	s_addc_u32 s22, s23, s22
	s_mul_i32 s23, s56, s73
	s_add_u32 s21, s21, s23
	s_mul_hi_u32 s23, s56, s73
	s_addc_u32 s22, s22, s23
	s_mul_i32 s23, s65, s19
	s_add_u32 s21, s21, s23
	;; [unrolled: 4-line block ×3, first 2 shown]
	s_addc_u32 s20, s22, s20
	s_add_u32 s21, s21, s88
	s_addc_u32 s20, s20, s89
	s_mul_i32 s22, s24, 0x3d10
	s_add_u32 s21, s21, s22
	s_mul_hi_u32 s22, s24, 0x3d10
	s_addc_u32 s20, s20, s22
	s_add_u32 s88, s21, s76
	s_addc_u32 s89, s20, s77
	s_mul_hi_u32 s20, s66, s19
	s_mul_i32 s21, s1, s19
	s_add_i32 s20, s20, s21
	s_and_b32 s76, s88, 0x3ffffff
	s_lshr_b64 s[88:89], s[88:89], 26
	s_mul_i32 s21, s5, s72
	s_mul_i32 s22, s61, s60
	s_lshl_b64 s[90:91], s[24:25], 10
	s_add_u32 s21, s22, s21
	s_mul_hi_u32 s22, s5, s72
	s_mul_hi_u32 s23, s61, s60
	s_addc_u32 s22, s23, s22
	s_mul_i32 s23, s62, s59
	s_add_u32 s21, s21, s23
	s_mul_hi_u32 s23, s62, s59
	s_addc_u32 s22, s22, s23
	s_mul_i32 s23, s0, s58
	s_add_u32 s21, s21, s23
	s_mul_hi_u32 s23, s0, s58
	s_addc_u32 s22, s22, s23
	s_add_u32 s70, s21, s70
	s_addc_u32 s71, s22, s71
	s_and_b32 s24, s70, 0x3ffffff
	s_lshr_b64 s[70:71], s[70:71], 26
	s_mul_i32 s21, s2, s18
	s_mul_i32 s22, s3, s17
	s_add_u32 s21, s22, s21
	s_mul_hi_u32 s22, s2, s18
	s_mul_hi_u32 s23, s3, s17
	s_addc_u32 s22, s23, s22
	s_mul_i32 s23, s4, s16
	s_add_u32 s21, s21, s23
	s_mul_hi_u32 s23, s4, s16
	s_addc_u32 s22, s22, s23
	s_mul_i32 s23, s56, vcc_hi
	s_add_u32 s21, s21, s23
	s_mul_hi_u32 s23, s56, vcc_hi
	s_addc_u32 s22, s22, s23
	s_mul_i32 s23, s65, s73
	s_add_u32 s21, s21, s23
	s_mul_hi_u32 s23, s65, s73
	s_addc_u32 s22, s22, s23
	s_mul_i32 s23, s66, s19
	s_add_u32 s21, s21, s23
	s_addc_u32 s20, s22, s20
	s_add_u32 s21, s21, s90
	s_addc_u32 s20, s20, s91
	s_mul_i32 s22, s24, 0x3d10
	s_add_u32 s21, s21, s22
	s_mul_hi_u32 s22, s24, 0x3d10
	s_addc_u32 s20, s20, s22
	s_add_u32 s88, s21, s88
	s_addc_u32 s89, s20, s89
	s_mul_hi_u32 s20, s66, s73
	s_mul_i32 s21, s1, s73
	s_add_i32 s20, s20, s21
	s_and_b32 s77, s88, 0x3ffffff
	s_lshr_b64 s[88:89], s[88:89], 26
	s_mul_i32 s21, s61, s72
	s_mul_i32 s22, s62, s60
	s_lshl_b64 s[90:91], s[24:25], 10
	s_add_u32 s21, s22, s21
	s_mul_hi_u32 s22, s61, s72
	s_mul_hi_u32 s23, s62, s60
	s_addc_u32 s22, s23, s22
	s_mul_i32 s23, s0, s59
	s_add_u32 s21, s21, s23
	s_mul_hi_u32 s23, s0, s59
	s_addc_u32 s22, s22, s23
	s_add_u32 s70, s21, s70
	s_addc_u32 s71, s22, s71
	s_and_b32 s24, s70, 0x3ffffff
	s_lshr_b64 s[70:71], s[70:71], 26
	s_mul_i32 s21, s2, s19
	s_mul_i32 s22, s3, s18
	s_add_u32 s21, s22, s21
	s_mul_hi_u32 s22, s2, s19
	s_mul_hi_u32 s23, s3, s18
	s_addc_u32 s22, s23, s22
	s_mul_i32 s23, s4, s17
	s_add_u32 s21, s21, s23
	s_mul_hi_u32 s23, s4, s17
	s_addc_u32 s22, s22, s23
	s_mul_i32 s23, s5, s16
	s_add_u32 s21, s21, s23
	;; [unrolled: 4-line block ×3, first 2 shown]
	s_mul_hi_u32 s23, s56, s58
	s_addc_u32 s22, s22, s23
	s_mul_i32 s23, s65, vcc_hi
	s_add_u32 s21, s21, s23
	s_mul_hi_u32 s23, s65, vcc_hi
	s_addc_u32 s22, s22, s23
	s_mul_i32 s23, s66, s73
	s_add_u32 s21, s21, s23
	s_addc_u32 s20, s22, s20
	s_add_u32 s21, s21, s90
	s_addc_u32 s20, s20, s91
	s_mul_i32 s22, s24, 0x3d10
	s_add_u32 s21, s21, s22
	s_mul_hi_u32 s22, s24, 0x3d10
	s_addc_u32 s20, s20, s22
	s_add_u32 s88, s21, s88
	s_addc_u32 s89, s20, s89
	s_mul_hi_u32 s20, s66, vcc_hi
	s_mul_i32 s21, s1, vcc_hi
	s_add_i32 s20, s20, s21
	s_and_b32 s78, s88, 0x3ffffff
	s_lshr_b64 s[88:89], s[88:89], 26
	s_mul_i32 s21, s62, s72
	s_mul_i32 s22, s0, s60
	s_lshl_b64 s[90:91], s[24:25], 10
	s_add_u32 s21, s22, s21
	s_mul_hi_u32 s22, s62, s72
	s_mul_hi_u32 s23, s0, s60
	s_addc_u32 s22, s23, s22
	s_add_u32 s70, s21, s70
	s_addc_u32 s71, s22, s71
	s_and_b32 s24, s70, 0x3ffffff
	s_lshr_b64 s[70:71], s[70:71], 26
	s_mul_i32 s21, s2, s73
	s_mul_i32 s22, s3, s19
	s_add_u32 s21, s22, s21
	s_mul_hi_u32 s22, s2, s73
	s_mul_hi_u32 s23, s3, s19
	s_addc_u32 s22, s23, s22
	s_mul_i32 s23, s4, s18
	s_add_u32 s21, s21, s23
	s_mul_hi_u32 s23, s4, s18
	s_addc_u32 s22, s22, s23
	s_mul_i32 s23, s5, s17
	s_add_u32 s21, s21, s23
	;; [unrolled: 4-line block ×5, first 2 shown]
	s_mul_hi_u32 s23, s65, s58
	s_addc_u32 s22, s22, s23
	s_mul_i32 s23, s66, vcc_hi
	s_add_u32 s21, s21, s23
	s_addc_u32 s20, s22, s20
	s_add_u32 s21, s21, s90
	s_addc_u32 s20, s20, s91
	s_mul_i32 s22, s24, 0x3d10
	s_add_u32 s21, s21, s22
	s_mul_hi_u32 s22, s24, 0x3d10
	s_addc_u32 s20, s20, s22
	s_add_u32 s90, s21, s88
	s_addc_u32 s91, s20, s89
	s_mul_hi_u32 s20, s66, s58
	s_mul_i32 s21, s1, s58
	s_add_i32 s20, s20, s21
	s_and_b32 s88, s90, 0x3ffffff
	s_lshr_b64 s[90:91], s[90:91], 26
	s_mul_i32 s22, s0, s72
	s_lshl_b64 s[92:93], s[24:25], 10
	s_mul_hi_u32 s21, s0, s72
	s_add_u32 s70, s70, s22
	s_addc_u32 s71, s71, s21
	s_and_b32 s24, s70, 0x3ffffff
	s_lshr_b64 s[70:71], s[70:71], 26
	s_mul_i32 s21, s2, vcc_hi
	s_mul_i32 s22, s3, s73
	s_add_u32 s21, s22, s21
	s_mul_hi_u32 s22, s2, vcc_hi
	s_mul_hi_u32 s23, s3, s73
	s_addc_u32 s22, s23, s22
	s_mul_i32 s23, s4, s19
	s_add_u32 s21, s21, s23
	s_mul_hi_u32 s23, s4, s19
	s_addc_u32 s22, s22, s23
	s_mul_i32 s23, s5, s18
	s_add_u32 s21, s21, s23
	;; [unrolled: 4-line block ×7, first 2 shown]
	s_addc_u32 s20, s22, s20
	s_add_u32 s21, s21, s92
	s_addc_u32 s20, s20, s93
	s_mul_i32 s22, s24, 0x3d10
	s_add_u32 s21, s21, s22
	s_mul_hi_u32 s22, s24, 0x3d10
	s_addc_u32 s20, s20, s22
	s_add_u32 s90, s21, s90
	s_addc_u32 s91, s20, s91
	s_and_b32 s89, s90, 0x3ffffff
	s_lshr_b64 s[90:91], s[90:91], 26
	s_mul_i32 s20, s70, 0x3d10
	s_lshl_b64 s[92:93], s[24:25], 10
	s_add_u32 s6, s20, s6
	s_mul_hi_u32 s20, s70, 0x3d10
	s_addc_u32 s20, s20, 0
	s_add_u32 s6, s6, s92
	s_addc_u32 s20, s20, s93
	s_add_u32 s90, s6, s90
	s_addc_u32 s91, s20, s91
	s_lshl_b64 s[70:71], s[70:71], 14
	s_and_b32 s93, s90, 0x3fffff
	s_lshr_b64 s[90:91], s[90:91], 22
	s_add_u32 s70, s90, s70
	s_addc_u32 s71, s91, s71
	s_mul_hi_u32 s6, s70, 0x3d1
	s_mul_i32 s20, s71, 0x3d1
	s_add_i32 s20, s6, s20
	s_mul_i32 s6, s70, 0x3d1
	s_add_u32 s6, s6, s7
	s_addc_u32 s7, s20, 0
	s_lshl_b64 s[70:71], s[70:71], 6
	s_and_b32 s90, s6, 0x3ffffff
	s_lshr_b64 s[6:7], s[6:7], 26
	s_add_u32 s20, s70, s69
	s_addc_u32 s21, s71, 0
	s_add_u32 s6, s20, s6
	s_addc_u32 s7, s21, s7
	s_and_b32 s91, s6, 0x3ffffff
	s_lshr_b64 s[6:7], s[6:7], 26
	s_add_u32 s92, s6, s67
	s_addc_u32 s94, s7, 0
	s_mul_i32 s6, s29, s16
	s_mul_hi_u32 s7, s28, s16
	s_add_i32 s7, s7, s6
	s_mul_i32 s6, s73, s37
	s_mul_i32 s20, s19, s50
	s_add_u32 s6, s6, s20
	s_mul_hi_u32 s20, s73, s37
	s_mul_hi_u32 s21, s19, s50
	s_addc_u32 s20, s20, s21
	s_mul_i32 s21, vcc_hi, s36
	s_add_u32 s6, s6, s21
	s_mul_hi_u32 s21, vcc_hi, s36
	s_addc_u32 s20, s20, s21
	s_mul_i32 s21, s58, s35
	s_add_u32 s6, s6, s21
	s_mul_hi_u32 s21, s58, s35
	s_addc_u32 s20, s20, s21
	s_mul_i32 s21, s59, s43
	s_add_u32 s6, s6, s21
	s_mul_hi_u32 s21, s59, s43
	;; [unrolled: 4-line block ×4, first 2 shown]
	s_addc_u32 s20, s20, s21
	s_mul_i32 s21, s28, s16
	s_add_u32 s6, s6, s21
	s_addc_u32 s7, s20, s7
	s_mul_i32 s20, s17, s40
	s_add_u32 s6, s6, s20
	s_mul_hi_u32 s20, s17, s40
	s_addc_u32 s7, s7, s20
	s_mul_i32 s20, s18, s51
	s_add_u32 s70, s6, s20
	s_mul_hi_u32 s6, s18, s51
	s_addc_u32 s71, s7, s6
	s_mul_i32 s6, s29, s17
	s_mul_hi_u32 s7, s28, s17
	s_add_i32 s7, s7, s6
	s_and_b32 s6, s70, 0x3ffffff
	s_lshr_b64 s[70:71], s[70:71], 26
	s_mul_i32 s20, s73, s50
	s_mul_i32 s21, s19, s51
	s_add_u32 s20, s20, s21
	s_mul_hi_u32 s21, s73, s50
	s_mul_hi_u32 s22, s19, s51
	s_addc_u32 s21, s21, s22
	s_mul_i32 s22, vcc_hi, s37
	s_add_u32 s20, s20, s22
	s_mul_hi_u32 s22, vcc_hi, s37
	s_addc_u32 s21, s21, s22
	s_mul_i32 s22, s58, s36
	s_add_u32 s20, s20, s22
	s_mul_hi_u32 s22, s58, s36
	s_addc_u32 s21, s21, s22
	s_mul_i32 s22, s59, s35
	s_add_u32 s20, s20, s22
	s_mul_hi_u32 s22, s59, s35
	;; [unrolled: 4-line block ×4, first 2 shown]
	s_addc_u32 s21, s21, s22
	s_mul_i32 s22, s28, s17
	s_add_u32 s20, s20, s22
	s_addc_u32 s7, s21, s7
	s_mul_i32 s21, s18, s40
	s_add_u32 s20, s20, s21
	s_mul_hi_u32 s21, s18, s40
	s_addc_u32 s7, s7, s21
	s_add_u32 s70, s20, s70
	s_addc_u32 s71, s7, s71
	s_and_b32 s24, s70, 0x3ffffff
	s_lshr_b64 s[70:71], s[70:71], 26
	s_mul_i32 s7, s16, s63
	s_mul_i32 s20, s24, 0x3d10
	s_add_u32 s26, s20, s7
	s_mul_hi_u32 s7, s16, s63
	s_mul_hi_u32 s20, s24, 0x3d10
	s_addc_u32 s27, s20, s7
	s_mul_i32 s7, s29, s18
	s_mul_hi_u32 s20, s28, s18
	s_add_i32 s22, s20, s7
	s_and_b32 s7, s26, 0x3ffffff
	s_lshr_b64 s[26:27], s[26:27], 26
	s_mul_i32 s23, s73, s51
	s_mul_i32 s57, s19, s40
	s_lshl_b64 s[20:21], s[24:25], 10
	s_add_u32 s23, s23, s57
	s_mul_hi_u32 s24, s73, s51
	s_mul_hi_u32 s57, s19, s40
	s_addc_u32 s24, s24, s57
	s_mul_i32 s57, vcc_hi, s50
	s_add_u32 s23, s23, s57
	s_mul_hi_u32 s57, vcc_hi, s50
	s_addc_u32 s24, s24, s57
	s_mul_i32 s57, s58, s37
	s_add_u32 s23, s23, s57
	s_mul_hi_u32 s57, s58, s37
	s_addc_u32 s24, s24, s57
	s_mul_i32 s57, s59, s36
	s_add_u32 s23, s23, s57
	s_mul_hi_u32 s57, s59, s36
	;; [unrolled: 4-line block ×4, first 2 shown]
	s_addc_u32 s24, s24, s57
	s_mul_i32 s57, s28, s18
	s_add_u32 s23, s23, s57
	s_addc_u32 s22, s24, s22
	s_add_u32 s70, s23, s70
	s_addc_u32 s71, s22, s71
	s_and_b32 s24, s70, 0x3ffffff
	s_lshr_b64 s[70:71], s[70:71], 26
	s_mul_i32 s22, s17, s63
	s_mul_i32 s23, s16, s42
	s_add_u32 s22, s22, s23
	s_mul_hi_u32 s23, s17, s63
	s_mul_hi_u32 s57, s16, s42
	s_addc_u32 s23, s23, s57
	s_add_u32 s20, s22, s20
	s_addc_u32 s21, s23, s21
	s_add_u32 s20, s20, s26
	s_addc_u32 s21, s21, s27
	s_mul_i32 s22, s24, 0x3d10
	s_add_u32 s20, s20, s22
	s_mul_hi_u32 s22, s24, 0x3d10
	s_addc_u32 s21, s21, s22
	s_mul_i32 s22, s29, s19
	s_mul_hi_u32 s23, s28, s19
	s_add_i32 s23, s23, s22
	s_and_b32 s67, s20, 0x3ffffff
	s_lshr_b64 s[20:21], s[20:21], 26
	s_mul_i32 s22, s73, s40
	s_mul_i32 s57, s28, s19
	s_lshl_b64 s[26:27], s[24:25], 10
	s_add_u32 s22, s22, s57
	s_mul_hi_u32 s24, s73, s40
	s_addc_u32 s23, s24, s23
	s_mul_i32 s24, vcc_hi, s51
	s_add_u32 s22, s22, s24
	s_mul_hi_u32 s24, vcc_hi, s51
	s_addc_u32 s23, s23, s24
	s_mul_i32 s24, s58, s50
	s_add_u32 s22, s22, s24
	s_mul_hi_u32 s24, s58, s50
	s_addc_u32 s23, s23, s24
	s_mul_i32 s24, s59, s37
	s_add_u32 s22, s22, s24
	s_mul_hi_u32 s24, s59, s37
	;; [unrolled: 4-line block ×4, first 2 shown]
	s_addc_u32 s23, s23, s24
	s_add_u32 s70, s22, s70
	s_addc_u32 s71, s23, s71
	s_and_b32 s24, s70, 0x3ffffff
	s_lshr_b64 s[70:71], s[70:71], 26
	s_mul_i32 s22, s17, s42
	s_mul_i32 s23, s16, s43
	s_add_u32 s22, s22, s23
	s_mul_hi_u32 s23, s17, s42
	s_mul_hi_u32 s57, s16, s43
	s_addc_u32 s23, s23, s57
	s_mul_i32 s57, s18, s63
	s_add_u32 s22, s22, s57
	s_mul_hi_u32 s57, s18, s63
	s_addc_u32 s23, s23, s57
	s_add_u32 s22, s22, s26
	s_addc_u32 s23, s23, s27
	s_mul_i32 s26, s24, 0x3d10
	s_add_u32 s22, s22, s26
	s_mul_hi_u32 s26, s24, 0x3d10
	s_addc_u32 s23, s23, s26
	s_add_u32 s20, s22, s20
	s_addc_u32 s21, s23, s21
	s_mul_i32 s22, s29, s73
	s_mul_hi_u32 s23, s28, s73
	s_add_i32 s23, s23, s22
	s_and_b32 s57, s20, 0x3ffffff
	s_lshr_b64 s[20:21], s[20:21], 26
	s_mul_i32 s22, vcc_hi, s40
	s_mul_i32 s69, s28, s73
	s_lshl_b64 s[26:27], s[24:25], 10
	s_add_u32 s22, s22, s69
	s_mul_hi_u32 s24, vcc_hi, s40
	s_addc_u32 s23, s24, s23
	s_mul_i32 s24, s58, s51
	s_add_u32 s22, s22, s24
	s_mul_hi_u32 s24, s58, s51
	s_addc_u32 s23, s23, s24
	s_mul_i32 s24, s59, s50
	s_add_u32 s22, s22, s24
	s_mul_hi_u32 s24, s59, s50
	;; [unrolled: 4-line block ×4, first 2 shown]
	s_addc_u32 s23, s23, s24
	s_add_u32 s70, s22, s70
	s_addc_u32 s71, s23, s71
	s_and_b32 s24, s70, 0x3ffffff
	s_lshr_b64 s[70:71], s[70:71], 26
	s_mul_i32 s22, s19, s63
	s_mul_i32 s23, s16, s35
	s_add_u32 s22, s23, s22
	s_mul_hi_u32 s23, s19, s63
	s_mul_hi_u32 s69, s16, s35
	s_addc_u32 s23, s69, s23
	s_mul_i32 s69, s17, s43
	s_add_u32 s22, s22, s69
	s_mul_hi_u32 s69, s17, s43
	s_addc_u32 s23, s23, s69
	s_mul_i32 s69, s18, s42
	s_add_u32 s22, s22, s69
	s_mul_hi_u32 s69, s18, s42
	s_addc_u32 s23, s23, s69
	s_add_u32 s22, s22, s26
	s_addc_u32 s23, s23, s27
	s_mul_i32 s26, s24, 0x3d10
	s_add_u32 s22, s22, s26
	s_mul_hi_u32 s26, s24, 0x3d10
	s_addc_u32 s23, s23, s26
	s_add_u32 s20, s22, s20
	s_addc_u32 s21, s23, s21
	s_mul_i32 s22, s29, vcc_hi
	s_mul_hi_u32 s23, s28, vcc_hi
	s_add_i32 s23, s23, s22
	s_and_b32 s74, s20, 0x3ffffff
	s_lshr_b64 s[20:21], s[20:21], 26
	s_mul_i32 s22, s58, s40
	s_mul_i32 s69, s28, vcc_hi
	s_lshl_b64 s[26:27], s[24:25], 10
	s_add_u32 s22, s22, s69
	s_mul_hi_u32 s24, s58, s40
	s_addc_u32 s23, s24, s23
	s_mul_i32 s24, s59, s51
	s_add_u32 s22, s22, s24
	s_mul_hi_u32 s24, s59, s51
	s_addc_u32 s23, s23, s24
	s_mul_i32 s24, s60, s50
	;; [unrolled: 4-line block ×3, first 2 shown]
	s_add_u32 s22, s22, s24
	s_mul_hi_u32 s24, s72, s37
	s_addc_u32 s23, s23, s24
	s_add_u32 s70, s22, s70
	s_addc_u32 s71, s23, s71
	s_and_b32 s24, s70, 0x3ffffff
	s_lshr_b64 s[70:71], s[70:71], 26
	s_mul_i32 s22, s73, s63
	s_mul_i32 s23, s19, s42
	s_add_u32 s22, s22, s23
	s_mul_hi_u32 s23, s73, s63
	s_mul_hi_u32 s69, s19, s42
	s_addc_u32 s23, s23, s69
	s_mul_i32 s69, s16, s36
	s_add_u32 s22, s22, s69
	s_mul_hi_u32 s69, s16, s36
	s_addc_u32 s23, s23, s69
	s_mul_i32 s69, s17, s35
	s_add_u32 s22, s22, s69
	;; [unrolled: 4-line block ×3, first 2 shown]
	s_mul_hi_u32 s69, s18, s43
	s_addc_u32 s23, s23, s69
	s_add_u32 s22, s22, s26
	s_addc_u32 s23, s23, s27
	s_mul_i32 s26, s24, 0x3d10
	s_add_u32 s22, s22, s26
	s_mul_hi_u32 s26, s24, 0x3d10
	s_addc_u32 s23, s23, s26
	s_add_u32 s20, s22, s20
	s_addc_u32 s21, s23, s21
	s_mul_i32 s22, s29, s58
	s_mul_hi_u32 s23, s28, s58
	s_add_i32 s23, s23, s22
	s_and_b32 s69, s20, 0x3ffffff
	s_lshr_b64 s[20:21], s[20:21], 26
	s_mul_i32 s22, s59, s40
	s_mul_i32 s33, s28, s58
	s_lshl_b64 s[26:27], s[24:25], 10
	s_add_u32 s22, s22, s33
	s_mul_hi_u32 s24, s59, s40
	s_addc_u32 s23, s24, s23
	s_mul_i32 s24, s60, s51
	s_add_u32 s22, s22, s24
	s_mul_hi_u32 s24, s60, s51
	s_addc_u32 s23, s23, s24
	s_mul_i32 s24, s72, s50
	s_add_u32 s22, s22, s24
	s_mul_hi_u32 s24, s72, s50
	s_addc_u32 s23, s23, s24
	s_add_u32 s70, s22, s70
	s_addc_u32 s71, s23, s71
	s_and_b32 s24, s70, 0x3ffffff
	s_lshr_b64 s[22:23], s[70:71], 26
	s_mul_i32 s33, s73, s42
	s_mul_i32 s70, s19, s43
	s_add_u32 s33, s33, s70
	s_mul_hi_u32 s70, s73, s42
	s_mul_hi_u32 s71, s19, s43
	s_addc_u32 s70, s70, s71
	s_mul_i32 s71, vcc_hi, s63
	s_add_u32 s33, s33, s71
	s_mul_hi_u32 s71, vcc_hi, s63
	s_addc_u32 s70, s70, s71
	s_mul_i32 s71, s16, s37
	s_add_u32 s33, s33, s71
	s_mul_hi_u32 s71, s16, s37
	s_addc_u32 s70, s70, s71
	s_mul_i32 s71, s17, s36
	s_add_u32 s33, s33, s71
	s_mul_hi_u32 s71, s17, s36
	;; [unrolled: 4-line block ×3, first 2 shown]
	s_addc_u32 s70, s70, s71
	s_add_u32 s26, s33, s26
	s_addc_u32 s27, s70, s27
	s_mul_i32 s33, s24, 0x3d10
	s_add_u32 s26, s26, s33
	s_mul_hi_u32 s33, s24, 0x3d10
	s_addc_u32 s27, s27, s33
	s_add_u32 s20, s26, s20
	s_addc_u32 s21, s27, s21
	s_mul_i32 s26, s29, s59
	s_mul_hi_u32 s27, s28, s59
	s_add_i32 s33, s27, s26
	s_and_b32 s70, s20, 0x3ffffff
	s_lshr_b64 s[20:21], s[20:21], 26
	s_mul_i32 s71, s60, s40
	s_mul_i32 s41, s28, s59
	s_lshl_b64 s[26:27], s[24:25], 10
	s_add_u32 s24, s71, s41
	s_mul_hi_u32 s41, s60, s40
	s_addc_u32 s33, s41, s33
	s_mul_i32 s41, s72, s51
	s_add_u32 s24, s24, s41
	s_mul_hi_u32 s41, s72, s51
	s_addc_u32 s33, s33, s41
	s_add_u32 s22, s24, s22
	s_addc_u32 s23, s33, s23
	s_and_b32 s24, s22, 0x3ffffff
	s_lshr_b64 s[22:23], s[22:23], 26
	s_mul_i32 s33, s73, s43
	s_mul_i32 s41, s19, s35
	s_add_u32 s33, s33, s41
	s_mul_hi_u32 s41, s73, s43
	s_mul_hi_u32 s71, s19, s35
	s_addc_u32 s41, s41, s71
	s_mul_i32 s71, vcc_hi, s42
	s_add_u32 s33, s33, s71
	s_mul_hi_u32 s71, vcc_hi, s42
	s_addc_u32 s41, s41, s71
	s_mul_i32 s71, s58, s63
	s_add_u32 s33, s33, s71
	s_mul_hi_u32 s71, s58, s63
	s_addc_u32 s41, s41, s71
	s_mul_i32 s71, s16, s50
	s_add_u32 s33, s33, s71
	s_mul_hi_u32 s71, s16, s50
	;; [unrolled: 4-line block ×4, first 2 shown]
	s_addc_u32 s41, s41, s71
	s_add_u32 s26, s33, s26
	s_addc_u32 s27, s41, s27
	s_mul_i32 s33, s24, 0x3d10
	s_add_u32 s26, s26, s33
	s_mul_hi_u32 s33, s24, 0x3d10
	s_addc_u32 s27, s27, s33
	s_add_u32 s20, s26, s20
	s_addc_u32 s21, s27, s21
	s_mul_i32 s26, s29, s60
	s_mul_hi_u32 s27, s28, s60
	s_add_i32 s33, s27, s26
	s_and_b32 s71, s20, 0x3ffffff
	s_lshr_b64 s[20:21], s[20:21], 26
	s_mul_i32 s41, s72, s40
	s_mul_i32 vcc_lo, s28, s60
	s_lshl_b64 s[26:27], s[24:25], 10
	s_add_u32 s24, s41, vcc_lo
	s_mul_hi_u32 s41, s72, s40
	s_addc_u32 s33, s41, s33
	s_add_u32 s22, s24, s22
	s_addc_u32 s23, s33, s23
	s_and_b32 s24, s22, 0x3ffffff
	s_lshr_b64 s[22:23], s[22:23], 26
	s_mul_i32 s33, s73, s35
	s_mul_i32 s41, s19, s36
	s_add_u32 s33, s33, s41
	s_mul_hi_u32 s41, s73, s35
	s_mul_hi_u32 vcc_lo, s19, s36
	s_addc_u32 s41, s41, vcc_lo
	s_mul_i32 vcc_lo, vcc_hi, s43
	s_add_u32 s33, s33, vcc_lo
	s_mul_hi_u32 vcc_lo, vcc_hi, s43
	s_addc_u32 s41, s41, vcc_lo
	s_mul_i32 vcc_lo, s58, s42
	s_add_u32 s33, s33, vcc_lo
	s_mul_hi_u32 vcc_lo, s58, s42
	s_addc_u32 s41, s41, vcc_lo
	s_mul_i32 vcc_lo, s59, s63
	s_add_u32 s33, s33, vcc_lo
	s_mul_hi_u32 vcc_lo, s59, s63
	;; [unrolled: 4-line block ×5, first 2 shown]
	s_addc_u32 s41, s41, vcc_lo
	s_add_u32 s26, s33, s26
	s_addc_u32 s27, s41, s27
	s_mul_i32 s33, s24, 0x3d10
	s_add_u32 s26, s26, s33
	s_mul_hi_u32 s33, s24, 0x3d10
	s_addc_u32 s27, s27, s33
	s_add_u32 s20, s26, s20
	s_addc_u32 s21, s27, s21
	s_mul_i32 s26, s29, s72
	s_mul_hi_u32 s27, s28, s72
	s_mul_i32 s28, s28, s72
	s_add_i32 s29, s27, s26
	s_and_b32 s72, s20, 0x3ffffff
	s_lshr_b64 s[20:21], s[20:21], 26
	s_lshl_b64 s[26:27], s[24:25], 10
	s_add_u32 s22, s22, s28
	s_addc_u32 s23, s23, s29
	s_mul_hi_u32 s29, s59, s42
	s_mul_i32 s59, s59, s42
	s_mul_hi_u32 s33, s58, s43
	s_mul_i32 s58, s58, s43
	s_mul_hi_u32 s41, vcc_hi, s35
	s_mul_i32 vcc_hi, vcc_hi, s35
	s_mul_hi_u32 s35, s73, s36
	s_mul_i32 s73, s73, s36
	s_mul_hi_u32 s36, s19, s37
	s_mul_i32 s19, s19, s37
	;; [unrolled: 2-line block ×5, first 2 shown]
	s_and_b32 s24, s22, 0x3ffffff
	s_lshr_b64 s[16:17], s[22:23], 26
	s_add_u32 s19, s73, s19
	s_addc_u32 s22, s35, s36
	s_add_u32 s19, s19, vcc_hi
	s_addc_u32 s22, s22, s41
	s_add_u32 s19, s19, s58
	s_addc_u32 s22, s22, s33
	s_add_u32 s19, s19, s59
	s_mul_hi_u32 s28, s60, s63
	s_mul_i32 s60, s60, s63
	s_addc_u32 s22, s22, s29
	s_add_u32 s19, s19, s60
	s_addc_u32 s22, s22, s28
	s_add_u32 s19, s19, s40
	s_addc_u32 s22, s22, s50
	s_add_u32 s19, s19, s43
	s_addc_u32 s22, s22, s42
	s_add_u32 s18, s19, s18
	s_addc_u32 s19, s22, s37
	s_add_u32 s18, s18, s26
	s_addc_u32 s19, s19, s27
	s_mul_i32 s22, s24, 0x3d10
	s_add_u32 s18, s18, s22
	s_mul_hi_u32 s22, s24, 0x3d10
	s_addc_u32 s19, s19, s22
	s_add_u32 s18, s18, s20
	s_addc_u32 s19, s19, s21
	s_lshr_b32 s20, s23, 26
	s_mulk_i32 s20, 0x3d10
	s_mul_hi_u32 s21, s16, 0x3d10
	s_add_i32 s22, s21, s20
	s_and_b32 s40, s18, 0x3ffffff
	s_lshr_b64 s[18:19], s[18:19], 26
	s_mul_i32 s23, s16, 0x3d10
	s_lshl_b64 s[20:21], s[24:25], 10
	s_add_u32 s6, s23, s6
	s_addc_u32 s22, s22, 0
	s_add_u32 s6, s6, s20
	s_addc_u32 s20, s22, s21
	;; [unrolled: 2-line block ×3, first 2 shown]
	s_and_b32 s24, s18, 0x3fffff
	s_lshl_b64 s[16:17], s[16:17], 14
	s_lshr_b64 s[18:19], s[18:19], 22
	s_add_u32 s16, s18, s16
	s_addc_u32 s17, s19, s17
	s_mul_hi_u32 s6, s16, 0x3d1
	s_mul_i32 s18, s17, 0x3d1
	s_add_i32 s18, s6, s18
	s_mul_i32 s6, s16, 0x3d1
	s_add_u32 s6, s6, s7
	s_addc_u32 s7, s18, 0
	s_lshl_b64 s[16:17], s[16:17], 6
	s_and_b32 s63, s6, 0x3ffffff
	s_lshr_b64 s[6:7], s[6:7], 26
	s_add_u32 s16, s16, s67
	s_addc_u32 s17, s17, 0
	s_add_u32 s6, s16, s6
	s_addc_u32 s7, s17, s7
	s_and_b32 s42, s6, 0x3ffffff
	s_lshr_b64 s[6:7], s[6:7], 26
	s_add_u32 s43, s6, s57
	s_addc_u32 s73, s7, 0
	s_mul_hi_u32 s6, s66, s11
	s_mul_i32 s7, s1, s11
	s_add_i32 s7, s6, s7
	s_mul_i32 s6, s2, s9
	s_mul_i32 s16, s3, s31
	s_add_u32 s6, s16, s6
	s_mul_hi_u32 s16, s2, s9
	s_mul_hi_u32 s17, s3, s31
	s_addc_u32 s16, s17, s16
	s_mul_i32 s17, s4, s15
	s_add_u32 s6, s6, s17
	s_mul_hi_u32 s17, s4, s15
	s_addc_u32 s16, s16, s17
	s_mul_i32 s17, s5, s14
	s_add_u32 s6, s6, s17
	s_mul_hi_u32 s17, s5, s14
	s_addc_u32 s16, s16, s17
	s_mul_i32 s17, s61, s12
	s_add_u32 s6, s6, s17
	s_mul_hi_u32 s17, s61, s12
	s_addc_u32 s16, s16, s17
	s_mul_i32 s17, s62, s10
	s_add_u32 s6, s6, s17
	s_mul_hi_u32 s17, s62, s10
	s_addc_u32 s16, s16, s17
	s_mul_i32 s17, s0, s8
	s_add_u32 s6, s6, s17
	s_mul_hi_u32 s17, s0, s8
	s_addc_u32 s16, s16, s17
	s_mul_i32 s17, s56, s52
	s_add_u32 s6, s6, s17
	s_mul_hi_u32 s17, s56, s52
	s_addc_u32 s16, s16, s17
	s_mul_i32 s17, s65, s13
	s_add_u32 s6, s6, s17
	s_mul_hi_u32 s17, s65, s13
	s_addc_u32 s16, s16, s17
	s_mul_i32 s17, s66, s11
	s_add_u32 s6, s6, s17
	s_addc_u32 s7, s16, s7
	s_mul_hi_u32 s16, s66, s13
	s_mul_i32 s17, s1, s13
	s_add_i32 s17, s16, s17
	s_and_b32 s16, s6, 0x3ffffff
	s_lshr_b64 s[6:7], s[6:7], 26
	s_mul_i32 s18, s2, s11
	s_mul_i32 s19, s3, s9
	s_add_u32 s18, s19, s18
	s_mul_hi_u32 s19, s2, s11
	s_mul_hi_u32 s20, s3, s9
	s_addc_u32 s19, s20, s19
	s_mul_i32 s20, s4, s31
	s_add_u32 s18, s18, s20
	s_mul_hi_u32 s20, s4, s31
	s_addc_u32 s19, s19, s20
	s_mul_i32 s20, s5, s15
	s_add_u32 s18, s18, s20
	;; [unrolled: 4-line block ×7, first 2 shown]
	s_addc_u32 s17, s19, s17
	s_add_u32 s6, s18, s6
	s_addc_u32 s7, s17, s7
	s_and_b32 s18, s6, 0x3ffffff
	s_lshr_b64 s[6:7], s[6:7], 26
	s_mul_i32 s17, s56, s8
	s_mul_i32 s19, s18, 0x3d10
	s_add_u32 s20, s19, s17
	s_mul_hi_u32 s17, s56, s8
	s_mul_hi_u32 s19, s18, 0x3d10
	s_addc_u32 s21, s19, s17
	s_mul_hi_u32 s17, s66, s52
	s_mul_i32 s19, s1, s52
	s_add_i32 s22, s17, s19
	s_mov_b32 s19, s25
	s_lshl_b64 s[18:19], s[18:19], 10
	s_and_b32 s17, s20, 0x3ffffff
	s_lshr_b64 s[20:21], s[20:21], 26
	s_mul_i32 s23, s2, s13
	s_mul_i32 s26, s3, s11
	s_add_u32 s23, s26, s23
	s_mul_hi_u32 s26, s2, s13
	s_mul_hi_u32 s27, s3, s11
	s_addc_u32 s26, s27, s26
	s_mul_i32 s27, s4, s9
	s_add_u32 s23, s23, s27
	s_mul_hi_u32 s27, s4, s9
	s_addc_u32 s26, s26, s27
	s_mul_i32 s27, s5, s31
	s_add_u32 s23, s23, s27
	;; [unrolled: 4-line block ×6, first 2 shown]
	s_addc_u32 s22, s26, s22
	s_add_u32 s6, s23, s6
	s_addc_u32 s7, s22, s7
	s_and_b32 s22, s6, 0x3ffffff
	s_lshr_b64 s[6:7], s[6:7], 26
	s_mul_i32 s23, s56, s10
	s_mul_i32 s26, s65, s8
	s_add_u32 s23, s26, s23
	s_mul_hi_u32 s26, s56, s10
	s_mul_hi_u32 s27, s65, s8
	s_addc_u32 s26, s27, s26
	s_add_u32 s18, s23, s18
	s_addc_u32 s19, s26, s19
	s_add_u32 s18, s18, s20
	s_addc_u32 s19, s19, s21
	s_mul_i32 s20, s22, 0x3d10
	s_add_u32 s20, s18, s20
	s_mul_hi_u32 s18, s22, 0x3d10
	s_addc_u32 s21, s19, s18
	s_mul_hi_u32 s18, s66, s8
	s_mul_i32 s19, s1, s8
	s_mov_b32 s23, s25
	s_add_i32 s19, s18, s19
	s_lshl_b64 s[22:23], s[22:23], 10
	s_and_b32 s18, s20, 0x3ffffff
	s_lshr_b64 s[20:21], s[20:21], 26
	s_mul_i32 s26, s2, s52
	s_mul_i32 s27, s3, s13
	s_add_u32 s26, s27, s26
	s_mul_hi_u32 s27, s2, s52
	s_mul_hi_u32 s28, s3, s13
	s_addc_u32 s27, s28, s27
	s_mul_i32 s28, s4, s11
	s_add_u32 s26, s26, s28
	s_mul_hi_u32 s28, s4, s11
	s_addc_u32 s27, s27, s28
	s_mul_i32 s28, s5, s9
	s_add_u32 s26, s26, s28
	;; [unrolled: 4-line block ×5, first 2 shown]
	s_mul_hi_u32 s28, s0, s14
	s_addc_u32 s27, s27, s28
	s_add_u32 s6, s26, s6
	s_addc_u32 s7, s27, s7
	s_and_b32 s26, s6, 0x3ffffff
	s_lshr_b64 s[6:7], s[6:7], 26
	s_mul_i32 s27, s56, s12
	s_mul_i32 s28, s65, s10
	s_add_u32 s27, s28, s27
	s_mul_hi_u32 s28, s56, s12
	s_mul_hi_u32 s29, s65, s10
	s_addc_u32 s28, s29, s28
	s_mul_i32 s29, s66, s8
	s_add_u32 s27, s27, s29
	s_addc_u32 s19, s28, s19
	s_add_u32 s22, s27, s22
	s_addc_u32 s19, s19, s23
	s_mul_i32 s23, s26, 0x3d10
	s_add_u32 s22, s22, s23
	s_mul_hi_u32 s23, s26, 0x3d10
	s_addc_u32 s19, s19, s23
	s_add_u32 s20, s22, s20
	s_addc_u32 s21, s19, s21
	s_mul_hi_u32 s19, s66, s10
	s_mul_i32 s22, s1, s10
	s_mov_b32 s27, s25
	s_add_i32 s28, s19, s22
	s_lshl_b64 s[22:23], s[26:27], 10
	s_and_b32 s19, s20, 0x3ffffff
	s_lshr_b64 s[20:21], s[20:21], 26
	s_mul_i32 s26, s3, s52
	s_mul_i32 s27, s4, s13
	s_add_u32 s26, s27, s26
	s_mul_hi_u32 s27, s3, s52
	s_mul_hi_u32 s29, s4, s13
	s_addc_u32 s27, s29, s27
	s_mul_i32 s29, s5, s11
	s_add_u32 s26, s26, s29
	s_mul_hi_u32 s29, s5, s11
	s_addc_u32 s27, s27, s29
	s_mul_i32 s29, s61, s9
	s_add_u32 s26, s26, s29
	s_mul_hi_u32 s29, s61, s9
	s_addc_u32 s27, s27, s29
	s_mul_i32 s29, s62, s31
	s_add_u32 s26, s26, s29
	s_mul_hi_u32 s29, s62, s31
	s_addc_u32 s27, s27, s29
	s_mul_i32 s29, s0, s15
	s_add_u32 s26, s26, s29
	s_mul_hi_u32 s29, s0, s15
	s_addc_u32 s27, s27, s29
	s_add_u32 s6, s26, s6
	s_addc_u32 s7, s27, s7
	s_and_b32 s26, s6, 0x3ffffff
	s_lshr_b64 s[6:7], s[6:7], 26
	s_mul_i32 s27, s2, s8
	s_mul_i32 s29, s56, s14
	s_add_u32 s27, s29, s27
	s_mul_hi_u32 s29, s2, s8
	s_mul_hi_u32 s33, s56, s14
	s_addc_u32 s29, s33, s29
	s_mul_i32 s33, s65, s12
	s_add_u32 s27, s27, s33
	s_mul_hi_u32 s33, s65, s12
	s_addc_u32 s29, s29, s33
	s_mul_i32 s33, s66, s10
	s_add_u32 s27, s27, s33
	s_addc_u32 s28, s29, s28
	s_add_u32 s22, s27, s22
	s_addc_u32 s23, s28, s23
	s_mul_i32 s27, s26, 0x3d10
	s_add_u32 s22, s22, s27
	s_mul_hi_u32 s27, s26, 0x3d10
	s_addc_u32 s23, s23, s27
	s_add_u32 s20, s22, s20
	s_addc_u32 s21, s23, s21
	s_mul_hi_u32 s22, s66, s12
	s_mul_i32 s23, s1, s12
	s_mov_b32 s27, s25
	s_add_i32 s29, s22, s23
	s_lshl_b64 s[22:23], s[26:27], 10
	s_and_b32 s28, s20, 0x3ffffff
	s_lshr_b64 s[20:21], s[20:21], 26
	s_mul_i32 s26, s4, s52
	s_mul_i32 s27, s5, s13
	s_add_u32 s26, s27, s26
	s_mul_hi_u32 s27, s4, s52
	s_mul_hi_u32 s33, s5, s13
	s_addc_u32 s27, s33, s27
	s_mul_i32 s33, s61, s11
	s_add_u32 s26, s26, s33
	s_mul_hi_u32 s33, s61, s11
	s_addc_u32 s27, s27, s33
	s_mul_i32 s33, s62, s9
	s_add_u32 s26, s26, s33
	;; [unrolled: 4-line block ×3, first 2 shown]
	s_mul_hi_u32 s33, s0, s31
	s_addc_u32 s27, s27, s33
	s_add_u32 s6, s26, s6
	s_addc_u32 s7, s27, s7
	s_and_b32 s26, s6, 0x3ffffff
	s_lshr_b64 s[6:7], s[6:7], 26
	s_mul_i32 s27, s2, s10
	s_mul_i32 s33, s3, s8
	s_add_u32 s27, s33, s27
	s_mul_hi_u32 s33, s2, s10
	s_mul_hi_u32 s35, s3, s8
	s_addc_u32 s33, s35, s33
	s_mul_i32 s35, s56, s15
	s_add_u32 s27, s27, s35
	s_mul_hi_u32 s35, s56, s15
	s_addc_u32 s33, s33, s35
	s_mul_i32 s35, s65, s14
	s_add_u32 s27, s27, s35
	;; [unrolled: 4-line block ×3, first 2 shown]
	s_addc_u32 s29, s33, s29
	s_add_u32 s22, s27, s22
	s_addc_u32 s23, s29, s23
	s_mul_i32 s27, s26, 0x3d10
	s_add_u32 s22, s22, s27
	s_mul_hi_u32 s27, s26, 0x3d10
	s_addc_u32 s23, s23, s27
	s_add_u32 s20, s22, s20
	s_addc_u32 s21, s23, s21
	s_mul_hi_u32 s22, s66, s14
	s_mul_i32 s23, s1, s14
	s_mov_b32 s27, s25
	s_add_i32 s33, s22, s23
	s_lshl_b64 s[22:23], s[26:27], 10
	s_and_b32 s29, s20, 0x3ffffff
	s_lshr_b64 s[20:21], s[20:21], 26
	s_mul_i32 s26, s5, s52
	s_mul_i32 s27, s61, s13
	s_add_u32 s26, s27, s26
	s_mul_hi_u32 s27, s5, s52
	s_mul_hi_u32 s35, s61, s13
	s_addc_u32 s27, s35, s27
	s_mul_i32 s35, s62, s11
	s_add_u32 s26, s26, s35
	s_mul_hi_u32 s35, s62, s11
	s_addc_u32 s27, s27, s35
	s_mul_i32 s35, s0, s9
	s_add_u32 s26, s26, s35
	s_mul_hi_u32 s35, s0, s9
	s_addc_u32 s27, s27, s35
	s_add_u32 s6, s26, s6
	s_addc_u32 s7, s27, s7
	s_and_b32 s26, s6, 0x3ffffff
	s_lshr_b64 s[6:7], s[6:7], 26
	s_mul_i32 s27, s2, s12
	s_mul_i32 s35, s3, s10
	s_add_u32 s27, s35, s27
	s_mul_hi_u32 s35, s2, s12
	s_mul_hi_u32 s36, s3, s10
	s_addc_u32 s35, s36, s35
	s_mul_i32 s36, s4, s8
	s_add_u32 s27, s27, s36
	s_mul_hi_u32 s36, s4, s8
	s_addc_u32 s35, s35, s36
	s_mul_i32 s36, s56, s31
	s_add_u32 s27, s27, s36
	;; [unrolled: 4-line block ×4, first 2 shown]
	s_addc_u32 s33, s35, s33
	s_add_u32 s22, s27, s22
	s_addc_u32 s23, s33, s23
	s_mul_i32 s27, s26, 0x3d10
	s_add_u32 s22, s22, s27
	s_mul_hi_u32 s27, s26, 0x3d10
	s_addc_u32 s23, s23, s27
	s_add_u32 s20, s22, s20
	s_addc_u32 s21, s23, s21
	s_mul_hi_u32 s22, s66, s15
	s_mul_i32 s23, s1, s15
	s_mov_b32 s27, s25
	s_add_i32 s33, s22, s23
	s_lshl_b64 s[22:23], s[26:27], 10
	s_and_b32 s35, s20, 0x3ffffff
	s_lshr_b64 s[20:21], s[20:21], 26
	s_mul_i32 s26, s61, s52
	s_mul_i32 s27, s62, s13
	s_add_u32 s26, s27, s26
	s_mul_hi_u32 s27, s61, s52
	s_mul_hi_u32 s36, s62, s13
	s_addc_u32 s27, s36, s27
	s_mul_i32 s36, s0, s11
	s_add_u32 s26, s26, s36
	s_mul_hi_u32 s36, s0, s11
	s_addc_u32 s27, s27, s36
	s_add_u32 s6, s26, s6
	s_addc_u32 s7, s27, s7
	s_and_b32 s26, s6, 0x3ffffff
	s_lshr_b64 s[6:7], s[6:7], 26
	s_mul_i32 s27, s2, s14
	s_mul_i32 s36, s3, s12
	s_add_u32 s27, s36, s27
	s_mul_hi_u32 s36, s2, s14
	s_mul_hi_u32 s37, s3, s12
	s_addc_u32 s36, s37, s36
	s_mul_i32 s37, s4, s10
	s_add_u32 s27, s27, s37
	s_mul_hi_u32 s37, s4, s10
	s_addc_u32 s36, s36, s37
	s_mul_i32 s37, s5, s8
	s_add_u32 s27, s27, s37
	;; [unrolled: 4-line block ×5, first 2 shown]
	s_addc_u32 s33, s36, s33
	s_add_u32 s22, s27, s22
	s_addc_u32 s23, s33, s23
	s_mul_i32 s27, s26, 0x3d10
	s_add_u32 s22, s22, s27
	s_mul_hi_u32 s27, s26, 0x3d10
	s_addc_u32 s23, s23, s27
	s_add_u32 s20, s22, s20
	s_addc_u32 s21, s23, s21
	s_mul_hi_u32 s22, s66, s31
	s_mul_i32 s23, s1, s31
	s_mov_b32 s27, s25
	s_add_i32 s33, s22, s23
	s_lshl_b64 s[22:23], s[26:27], 10
	s_and_b32 s36, s20, 0x3ffffff
	s_lshr_b64 s[20:21], s[20:21], 26
	s_mul_i32 s26, s62, s52
	s_mul_i32 s27, s0, s13
	s_add_u32 s26, s27, s26
	s_mul_hi_u32 s27, s62, s52
	s_mul_hi_u32 s37, s0, s13
	s_addc_u32 s27, s37, s27
	s_add_u32 s6, s26, s6
	s_addc_u32 s7, s27, s7
	s_and_b32 s26, s6, 0x3ffffff
	s_lshr_b64 s[58:59], s[6:7], 26
	s_mul_i32 s6, s2, s15
	s_mul_i32 s7, s3, s14
	s_add_u32 s6, s7, s6
	s_mul_hi_u32 s7, s2, s15
	s_mul_hi_u32 s27, s3, s14
	s_addc_u32 s7, s27, s7
	s_mul_i32 s27, s4, s12
	s_add_u32 s6, s6, s27
	s_mul_hi_u32 s27, s4, s12
	s_addc_u32 s7, s7, s27
	s_mul_i32 s27, s5, s10
	s_add_u32 s6, s6, s27
	;; [unrolled: 4-line block ×6, first 2 shown]
	s_addc_u32 s7, s7, s33
	s_add_u32 s6, s6, s22
	s_addc_u32 s7, s7, s23
	s_mul_i32 s22, s26, 0x3d10
	s_add_u32 s6, s6, s22
	s_mul_hi_u32 s22, s26, 0x3d10
	s_addc_u32 s7, s7, s22
	s_add_u32 s20, s6, s20
	s_addc_u32 s21, s7, s21
	s_mul_i32 s1, s1, s9
	s_mul_hi_u32 s50, s66, s9
	s_mov_b32 s27, s25
	s_mul_hi_u32 s22, s0, s52
	s_mul_i32 s23, s0, s52
	s_add_i32 s50, s50, s1
	s_lshl_b64 s[6:7], s[26:27], 10
	s_and_b32 s37, s20, 0x3ffffff
	s_lshr_b64 s[0:1], s[20:21], 26
	s_add_u32 s20, s58, s23
	s_addc_u32 s21, s59, s22
	s_mul_hi_u32 s22, s2, s31
	s_mul_i32 s23, s2, s31
	s_mul_hi_u32 s26, s3, s15
	s_mul_i32 s15, s3, s15
	;; [unrolled: 2-line block ×3, first 2 shown]
	s_and_b32 s4, s20, 0x3ffffff
	s_lshr_b64 s[2:3], s[20:21], 26
	s_mul_i32 s66, s66, s9
	s_add_u32 s9, s15, s23
	s_mul_hi_u32 s31, s5, s12
	s_mul_i32 s5, s5, s12
	s_mul_hi_u32 s12, s61, s10
	s_mul_i32 s61, s61, s10
	;; [unrolled: 2-line block ×5, first 2 shown]
	s_addc_u32 s11, s26, s22
	s_add_u32 s9, s9, s14
	s_addc_u32 s11, s11, s27
	s_add_u32 s5, s9, s5
	;; [unrolled: 2-line block ×8, first 2 shown]
	s_addc_u32 s6, s10, s7
	s_mul_i32 s9, s4, 0x3d10
	s_add_u32 s8, s8, s9
	s_mul_hi_u32 s9, s4, 0x3d10
	s_addc_u32 s6, s6, s9
	s_add_u32 s0, s8, s0
	s_mov_b32 s5, s25
	s_addc_u32 s1, s6, s1
	s_mul_i32 s6, s2, 0x3d10
	s_lshl_b64 s[4:5], s[4:5], 10
	s_and_b32 s9, s0, 0x3ffffff
	s_lshr_b64 s[0:1], s[0:1], 26
	s_mul_hi_u32 s8, s2, 0x3d10
	s_add_u32 s6, s6, s16
	s_addc_u32 s8, s8, 0
	s_add_u32 s4, s6, s4
	s_addc_u32 s5, s8, s5
	;; [unrolled: 2-line block ×3, first 2 shown]
	s_lshl_b64 s[2:3], s[2:3], 14
	s_and_b32 s4, s0, 0x3fffff
	s_lshr_b64 s[0:1], s[0:1], 22
	s_add_u32 s0, s0, s2
	s_addc_u32 s1, s1, s3
	s_mul_hi_u32 s2, s0, 0x3d1
	s_mul_i32 s5, s1, 0x3d1
	s_mul_i32 s3, s0, 0x3d1
	s_add_i32 s5, s2, s5
	s_add_u32 s2, s3, s17
	s_addc_u32 s3, s5, 0
	s_lshl_b64 s[0:1], s[0:1], 6
	s_and_b32 s5, s2, 0x3ffffff
	s_lshr_b64 s[2:3], s[2:3], 26
	s_add_u32 s0, s0, s18
	s_addc_u32 s1, s1, 0
	s_add_u32 s0, s0, s2
	s_addc_u32 s1, s1, s3
	s_lshl_b32 s6, s28, 1
	s_lshl_b32 s8, s29, 1
	s_add_i32 s6, s6, s75
	v_readlane_b32 s15, v15, 11
	s_lshl_b32 s10, s35, 1
	s_add_i32 s8, s8, s76
	s_sub_i32 s6, s15, s6
	v_readlane_b32 s15, v15, 12
	s_lshl_b32 s3, s5, 1
	s_lshl_b32 s11, s36, 1
	s_add_i32 s10, s10, s77
	s_sub_i32 s8, s15, s8
	v_readlane_b32 s15, v15, 4
	s_and_b32 s2, s0, 0x3ffffff
	s_lshl_b32 s12, s37, 1
	s_add_i32 s3, s3, s90
	s_add_i32 s11, s11, s78
	s_sub_i32 s10, s15, s10
	v_readlane_b32 s15, v15, 5
	s_lshr_b64 s[0:1], s[0:1], 26
	s_add_i32 s12, s12, s88
	s_sub_i32 s3, s53, s3
	s_lshl_b32 s14, s2, 1
	s_sub_i32 s11, s15, s11
	v_readlane_b32 s15, v15, 8
	s_add_i32 s1, s0, s19
	s_sub_i32 s12, s15, s12
	s_add_i32 s14, s14, s91
	s_add_i32 s15, s3, 0x1fffe178
	s_lshl_b32 s0, s9, 1
	s_lshl_b32 s13, s4, 1
	v_writelane_b32 v15, s15, 11
	s_sub_i32 s14, s68, s14
	s_lshl_b32 s15, s1, 1
	s_add_i32 s0, s0, s89
	s_add_i32 s13, s13, s93
	;; [unrolled: 1-line block ×3, first 2 shown]
	s_sub_i32 s11, s36, s11
	s_add_i32 s15, s15, s92
	s_sub_i32 s36, s2, s14
	v_readlane_b32 s2, v15, 13
	s_sub_i32 s0, s55, s0
	s_sub_i32 s13, s54, s13
	;; [unrolled: 1-line block ×6, first 2 shown]
	s_add_i32 s53, s6, 0x1ffffff8
	s_add_i32 s54, s8, 0x1ffffff8
	s_sub_i32 s5, s35, s10
	s_add_i32 s56, s0, 0x1ffffff8
	s_sub_i32 s6, s37, s12
	s_sub_i32 s0, s9, s0
	;; [unrolled: 1-line block ×3, first 2 shown]
	s_add_i32 s35, s3, 0xffffffc
	s_add_i32 s29, s29, 0xffffffc
	s_sub_i32 s37, s1, s2
	s_add_i32 s55, s10, 0x1ffffff8
	s_add_i32 s52, s12, 0x1ffffff8
	;; [unrolled: 1-line block ×11, first 2 shown]
	s_mul_i32 s6, s35, s80
	s_mul_i32 s8, s29, s85
	s_add_i32 s65, s2, 0x1ffffff8
	s_add_i32 s37, s37, 0xffffffc
	s_mul_hi_u32 s3, s35, s80
	s_mul_hi_u32 s9, s29, s85
	s_add_u32 s1, s8, s6
	s_mul_i32 s10, s13, s83
	s_addc_u32 s3, s9, s3
	s_mul_hi_u32 s12, s13, s83
	s_add_u32 s1, s1, s10
	s_mul_i32 s14, s11, s82
	s_addc_u32 s3, s3, s12
	;; [unrolled: 4-line block ×8, first 2 shown]
	s_mul_hi_u32 s6, s37, s81
	s_add_u32 s2, s1, s2
	s_addc_u32 s3, s3, s6
	s_mul_i32 s8, s35, s81
	s_mul_i32 s9, s29, s80
	s_and_b32 s10, s2, 0x3ffffff
	s_lshr_b64 s[2:3], s[2:3], 26
	s_mul_hi_u32 s14, s35, s81
	s_mul_hi_u32 s12, s29, s80
	s_add_u32 s6, s9, s8
	s_mul_i32 s1, s13, s85
	s_addc_u32 s9, s12, s14
	s_mul_hi_u32 s8, s13, s85
	s_add_u32 s1, s6, s1
	s_mul_i32 s12, s11, s83
	s_addc_u32 s8, s9, s8
	;; [unrolled: 4-line block ×5, first 2 shown]
	s_mul_hi_u32 s8, s0, s84
	s_add_u32 s1, s1, s12
	s_addc_u32 s6, s6, s8
	s_mul_i32 s8, s36, s87
	s_add_u32 s1, s1, s8
	s_mul_hi_u32 s8, s36, s87
	s_addc_u32 s6, s6, s8
	s_mul_i32 s8, s37, s86
	s_add_u32 s1, s1, s8
	s_mul_hi_u32 s8, s37, s86
	s_addc_u32 s6, s6, s8
	s_add_u32 s2, s1, s2
	s_addc_u32 s3, s6, s3
	s_and_b32 s6, s2, 0x3ffffff
	s_mul_i32 s9, s31, s79
	s_lshr_b64 s[2:3], s[2:3], 26
	s_mul_i32 s8, s6, 0x3d10
	s_mul_hi_u32 s12, s31, s79
	s_mul_hi_u32 s14, s6, 0x3d10
	s_add_u32 s8, s8, s9
	s_mov_b32 s7, s25
	s_addc_u32 s9, s14, s12
	s_mul_i32 s1, s35, s86
	s_mul_i32 s14, s29, s81
	s_lshl_b64 s[6:7], s[6:7], 10
	s_and_b32 s12, s8, 0x3ffffff
	s_lshr_b64 s[8:9], s[8:9], 26
	s_add_u32 s1, s14, s1
	s_mul_hi_u32 s14, s35, s86
	s_mul_hi_u32 s15, s29, s81
	s_addc_u32 s14, s15, s14
	s_mul_i32 s15, s13, s80
	s_add_u32 s1, s1, s15
	s_mul_hi_u32 s15, s13, s80
	s_addc_u32 s14, s14, s15
	s_mul_i32 s15, s11, s85
	s_add_u32 s1, s1, s15
	;; [unrolled: 4-line block ×6, first 2 shown]
	s_mul_hi_u32 s15, s37, s87
	s_addc_u32 s14, s14, s15
	s_add_u32 s2, s1, s2
	s_addc_u32 s3, s14, s3
	s_and_b32 s14, s2, 0x3ffffff
	s_lshr_b64 s[2:3], s[2:3], 26
	s_mul_i32 s1, s31, s84
	s_mul_i32 s15, s36, s79
	s_add_u32 s1, s15, s1
	s_mul_hi_u32 s15, s31, s84
	s_mul_hi_u32 s16, s36, s79
	s_addc_u32 s15, s16, s15
	s_add_u32 s1, s1, s6
	s_addc_u32 s6, s15, s7
	s_add_u32 s1, s1, s8
	s_addc_u32 s7, s6, s9
	s_mul_i32 s6, s14, 0x3d10
	s_mul_hi_u32 s8, s14, 0x3d10
	s_add_u32 s6, s1, s6
	s_mov_b32 s15, s25
	s_addc_u32 s7, s7, s8
	s_mul_i32 s1, s35, s87
	s_lshl_b64 s[8:9], s[14:15], 10
	s_and_b32 s14, s6, 0x3ffffff
	s_lshr_b64 s[6:7], s[6:7], 26
	s_mul_i32 s15, s29, s86
	s_add_u32 s1, s15, s1
	s_mul_hi_u32 s15, s35, s87
	s_mul_hi_u32 s16, s29, s86
	s_addc_u32 s15, s16, s15
	s_mul_i32 s16, s13, s81
	s_add_u32 s1, s1, s16
	s_mul_hi_u32 s16, s13, s81
	s_addc_u32 s15, s15, s16
	s_mul_i32 s16, s11, s80
	s_add_u32 s1, s1, s16
	;; [unrolled: 4-line block ×5, first 2 shown]
	s_mul_hi_u32 s16, s0, s82
	s_addc_u32 s15, s15, s16
	s_add_u32 s2, s1, s2
	s_addc_u32 s3, s15, s3
	s_and_b32 s16, s2, 0x3ffffff
	s_lshr_b64 s[2:3], s[2:3], 26
	s_mul_i32 s1, s31, s95
	s_mul_i32 s15, s36, s84
	s_add_u32 s1, s15, s1
	s_mul_hi_u32 s15, s31, s95
	s_mul_hi_u32 s17, s36, s84
	s_addc_u32 s15, s17, s15
	s_mul_i32 s17, s37, s79
	s_add_u32 s1, s1, s17
	s_mul_hi_u32 s17, s37, s79
	s_addc_u32 s15, s15, s17
	s_add_u32 s1, s1, s8
	s_addc_u32 s8, s15, s9
	s_mul_i32 s9, s16, 0x3d10
	s_add_u32 s1, s1, s9
	s_mul_hi_u32 s9, s16, 0x3d10
	s_addc_u32 s8, s8, s9
	s_add_u32 s6, s1, s6
	s_addc_u32 s7, s8, s7
	s_mov_b32 s17, s25
	s_lshl_b64 s[8:9], s[16:17], 10
	s_and_b32 s28, s6, 0x3ffffff
	s_lshr_b64 s[6:7], s[6:7], 26
	s_mul_i32 s1, s29, s87
	s_mul_i32 s15, s13, s86
	s_add_u32 s1, s15, s1
	s_mul_hi_u32 s15, s29, s87
	s_mul_hi_u32 s16, s13, s86
	s_addc_u32 s15, s16, s15
	s_mul_i32 s16, s11, s81
	s_add_u32 s1, s1, s16
	s_mul_hi_u32 s16, s11, s81
	s_addc_u32 s15, s15, s16
	s_mul_i32 s16, s5, s80
	s_add_u32 s1, s1, s16
	;; [unrolled: 4-line block ×4, first 2 shown]
	s_mul_hi_u32 s16, s0, s83
	s_addc_u32 s15, s15, s16
	s_add_u32 s2, s1, s2
	s_addc_u32 s3, s15, s3
	s_and_b32 s16, s2, 0x3ffffff
	s_lshr_b64 s[2:3], s[2:3], 26
	s_mul_i32 s1, s31, s82
	s_mul_i32 s15, s35, s79
	s_add_u32 s1, s1, s15
	s_mul_hi_u32 s15, s31, s82
	s_mul_hi_u32 s17, s35, s79
	s_addc_u32 s15, s15, s17
	s_mul_i32 s17, s36, s95
	s_add_u32 s1, s1, s17
	s_mul_hi_u32 s17, s36, s95
	s_addc_u32 s15, s15, s17
	s_mul_i32 s17, s37, s84
	s_add_u32 s1, s1, s17
	s_mul_hi_u32 s17, s37, s84
	s_addc_u32 s15, s15, s17
	s_add_u32 s1, s1, s8
	s_addc_u32 s8, s15, s9
	s_mul_i32 s9, s16, 0x3d10
	s_add_u32 s1, s1, s9
	s_mul_hi_u32 s9, s16, 0x3d10
	s_addc_u32 s8, s8, s9
	s_add_u32 s6, s1, s6
	s_addc_u32 s7, s8, s7
	s_mov_b32 s17, s25
	s_lshl_b64 s[8:9], s[16:17], 10
	s_and_b32 s17, s6, 0x3ffffff
	s_lshr_b64 s[6:7], s[6:7], 26
	s_mul_i32 s1, s13, s87
	s_mul_i32 s15, s11, s86
	s_add_u32 s1, s15, s1
	s_mul_hi_u32 s15, s13, s87
	s_mul_hi_u32 s16, s11, s86
	s_addc_u32 s15, s16, s15
	s_mul_i32 s16, s5, s81
	s_add_u32 s1, s1, s16
	s_mul_hi_u32 s16, s5, s81
	s_addc_u32 s15, s15, s16
	s_mul_i32 s16, s4, s80
	s_add_u32 s1, s1, s16
	;; [unrolled: 4-line block ×3, first 2 shown]
	s_mul_hi_u32 s16, s0, s85
	s_addc_u32 s15, s15, s16
	s_add_u32 s2, s1, s2
	s_addc_u32 s3, s15, s3
	s_and_b32 s18, s2, 0x3ffffff
	s_lshr_b64 s[2:3], s[2:3], 26
	s_mul_i32 s1, s35, s84
	s_mul_i32 s15, s29, s79
	s_add_u32 s1, s15, s1
	s_mul_hi_u32 s15, s35, s84
	s_mul_hi_u32 s16, s29, s79
	s_addc_u32 s15, s16, s15
	s_mul_i32 s16, s31, s83
	s_add_u32 s1, s1, s16
	s_mul_hi_u32 s16, s31, s83
	s_addc_u32 s15, s15, s16
	s_mul_i32 s16, s36, s82
	s_add_u32 s1, s1, s16
	;; [unrolled: 4-line block ×3, first 2 shown]
	s_mul_hi_u32 s16, s37, s95
	s_addc_u32 s15, s15, s16
	s_add_u32 s1, s1, s8
	s_addc_u32 s8, s15, s9
	s_mul_i32 s9, s18, 0x3d10
	s_add_u32 s1, s1, s9
	s_mul_hi_u32 s9, s18, 0x3d10
	s_addc_u32 s8, s8, s9
	s_add_u32 s6, s1, s6
	s_addc_u32 s7, s8, s7
	s_mov_b32 s19, s25
	s_lshl_b64 s[8:9], s[18:19], 10
	s_and_b32 s19, s6, 0x3ffffff
	s_lshr_b64 s[6:7], s[6:7], 26
	s_mul_i32 s1, s11, s87
	s_mul_i32 s15, s5, s86
	s_add_u32 s1, s15, s1
	s_mul_hi_u32 s15, s11, s87
	s_mul_hi_u32 s16, s5, s86
	s_addc_u32 s15, s16, s15
	s_mul_i32 s16, s4, s81
	s_add_u32 s1, s1, s16
	s_mul_hi_u32 s16, s4, s81
	s_addc_u32 s15, s15, s16
	s_mul_i32 s16, s0, s80
	s_add_u32 s1, s1, s16
	s_mul_hi_u32 s16, s0, s80
	s_addc_u32 s15, s15, s16
	s_add_u32 s2, s1, s2
	s_addc_u32 s3, s15, s3
	s_and_b32 s20, s2, 0x3ffffff
	s_lshr_b64 s[2:3], s[2:3], 26
	s_mul_i32 s1, s35, s95
	s_mul_i32 s15, s29, s84
	s_add_u32 s1, s15, s1
	s_mul_hi_u32 s15, s35, s95
	s_mul_hi_u32 s16, s29, s84
	s_addc_u32 s15, s16, s15
	s_mul_i32 s16, s13, s79
	s_add_u32 s1, s1, s16
	s_mul_hi_u32 s16, s13, s79
	s_addc_u32 s15, s15, s16
	s_mul_i32 s16, s31, s85
	s_add_u32 s1, s1, s16
	;; [unrolled: 4-line block ×4, first 2 shown]
	s_mul_hi_u32 s16, s37, s82
	s_addc_u32 s15, s15, s16
	s_add_u32 s1, s1, s8
	s_addc_u32 s8, s15, s9
	s_mul_i32 s9, s20, 0x3d10
	s_add_u32 s1, s1, s9
	s_mul_hi_u32 s9, s20, 0x3d10
	s_addc_u32 s8, s8, s9
	s_add_u32 s6, s1, s6
	s_addc_u32 s7, s8, s7
	s_mov_b32 s21, s25
	s_lshl_b64 s[8:9], s[20:21], 10
	s_and_b32 s16, s6, 0x3ffffff
	s_lshr_b64 s[6:7], s[6:7], 26
	s_mul_i32 s1, s5, s87
	s_mul_i32 s15, s4, s86
	s_add_u32 s1, s15, s1
	s_mul_hi_u32 s15, s5, s87
	s_mul_hi_u32 s18, s4, s86
	s_addc_u32 s15, s18, s15
	s_mul_i32 s18, s0, s81
	s_add_u32 s1, s1, s18
	s_mul_hi_u32 s18, s0, s81
	s_addc_u32 s15, s15, s18
	s_add_u32 s2, s1, s2
	s_addc_u32 s3, s15, s3
	s_and_b32 s20, s2, 0x3ffffff
	s_lshr_b64 s[2:3], s[2:3], 26
	s_mul_i32 s1, s35, s82
	s_mul_i32 s15, s29, s95
	s_add_u32 s1, s15, s1
	s_mul_hi_u32 s15, s35, s82
	s_mul_hi_u32 s18, s29, s95
	s_addc_u32 s15, s18, s15
	s_mul_i32 s18, s13, s84
	s_add_u32 s1, s1, s18
	s_mul_hi_u32 s18, s13, s84
	s_addc_u32 s15, s15, s18
	s_mul_i32 s18, s11, s79
	s_add_u32 s1, s1, s18
	;; [unrolled: 4-line block ×5, first 2 shown]
	s_mul_hi_u32 s18, s37, s83
	s_addc_u32 s15, s15, s18
	s_add_u32 s1, s1, s8
	s_addc_u32 s8, s15, s9
	s_mul_i32 s9, s20, 0x3d10
	s_add_u32 s1, s1, s9
	s_mul_hi_u32 s9, s20, 0x3d10
	s_addc_u32 s8, s8, s9
	s_add_u32 s6, s1, s6
	s_addc_u32 s7, s8, s7
	s_lshl_b64 s[8:9], s[20:21], 10
	s_and_b32 s18, s6, 0x3ffffff
	s_lshr_b64 s[6:7], s[6:7], 26
	s_mul_i32 s1, s4, s87
	s_mul_i32 s15, s0, s86
	s_add_u32 s1, s15, s1
	s_mul_hi_u32 s15, s4, s87
	s_mul_hi_u32 s20, s0, s86
	s_addc_u32 s15, s20, s15
	s_add_u32 s2, s1, s2
	s_addc_u32 s3, s15, s3
	s_and_b32 s20, s2, 0x3ffffff
	s_lshr_b64 s[22:23], s[2:3], 26
	s_mul_i32 s1, s35, s83
	s_mul_i32 s2, s29, s82
	s_add_u32 s1, s2, s1
	s_mul_hi_u32 s2, s35, s83
	s_mul_hi_u32 s3, s29, s82
	s_addc_u32 s2, s3, s2
	s_mul_i32 s3, s13, s95
	s_add_u32 s1, s1, s3
	s_mul_hi_u32 s3, s13, s95
	s_addc_u32 s2, s2, s3
	s_mul_i32 s3, s11, s84
	s_add_u32 s1, s1, s3
	;; [unrolled: 4-line block ×6, first 2 shown]
	s_mul_hi_u32 s3, s37, s85
	s_addc_u32 s2, s2, s3
	s_add_u32 s1, s1, s8
	s_addc_u32 s2, s2, s9
	s_mul_i32 s3, s20, 0x3d10
	s_add_u32 s1, s1, s3
	s_mul_hi_u32 s3, s20, 0x3d10
	s_addc_u32 s3, s2, s3
	s_add_u32 s2, s1, s6
	s_addc_u32 s3, s3, s7
	s_mul_hi_u32 s1, s0, s87
	s_mul_i32 s0, s0, s87
	s_lshl_b64 s[8:9], s[20:21], 10
	s_and_b32 s50, s2, 0x3ffffff
	s_lshr_b64 s[2:3], s[2:3], 26
	s_add_u32 s0, s22, s0
	s_addc_u32 s1, s23, s1
	s_mul_i32 s20, s35, s85
	s_mul_i32 s22, s29, s83
	s_mul_hi_u32 s23, s13, s82
	s_mul_i32 s26, s13, s82
	s_mul_hi_u32 s27, s11, s95
	;; [unrolled: 2-line block ×4, first 2 shown]
	s_mul_i32 s57, s4, s79
	s_and_b32 s6, s0, 0x3ffffff
	s_lshr_b64 s[4:5], s[0:1], 26
	s_mul_hi_u32 s7, s35, s85
	s_mul_hi_u32 s21, s29, s83
	s_add_u32 s0, s22, s20
	s_addc_u32 s7, s21, s7
	s_add_u32 s0, s0, s26
	s_addc_u32 s7, s7, s23
	;; [unrolled: 2-line block ×3, first 2 shown]
	s_mul_hi_u32 s15, s31, s86
	s_mul_i32 s51, s31, s86
	s_mul_hi_u32 s31, s37, s80
	s_mul_i32 s35, s37, s80
	s_add_u32 s37, s20, s58
	s_addc_u32 s0, s0, s11
	s_add_u32 s20, s37, s57
	s_addc_u32 s0, s0, s13
	s_add_u32 s37, s20, s51
	s_mul_hi_u32 s29, s36, s81
	s_mul_i32 s36, s36, s81
	s_addc_u32 s0, s0, s15
	s_add_u32 s20, s37, s36
	s_addc_u32 s0, s0, s29
	s_add_u32 s20, s20, s35
	;; [unrolled: 2-line block ×3, first 2 shown]
	s_addc_u32 s0, s0, s9
	s_mul_i32 s20, s6, 0x3d10
	s_add_u32 s8, s8, s20
	s_mul_hi_u32 s20, s6, 0x3d10
	s_addc_u32 s0, s0, s20
	s_add_u32 s2, s8, s2
	s_addc_u32 s3, s0, s3
	s_lshr_b32 s1, s1, 26
	s_mov_b32 s7, s25
	s_mul_hi_u32 s0, s4, 0x3d10
	s_mulk_i32 s1, 0x3d10
	s_mul_i32 s21, s4, 0x3d10
	s_add_i32 s22, s0, s1
	s_and_b32 s51, s2, 0x3ffffff
	s_lshl_b64 s[0:1], s[6:7], 10
	s_lshr_b64 s[2:3], s[2:3], 26
	s_add_u32 s6, s21, s10
	s_addc_u32 s10, s22, 0
	s_add_u32 s0, s6, s0
	s_addc_u32 s1, s10, s1
	;; [unrolled: 2-line block ×3, first 2 shown]
	s_and_b32 s58, s0, 0x3fffff
	s_lshl_b64 s[2:3], s[4:5], 14
	s_lshr_b64 s[0:1], s[0:1], 22
	s_add_u32 s0, s0, s2
	s_addc_u32 s1, s1, s3
	s_mul_hi_u32 s2, s0, 0x3d1
	s_mul_i32 s3, s1, 0x3d1
	s_add_i32 s3, s2, s3
	s_mul_i32 s2, s0, 0x3d1
	s_add_u32 s2, s2, s12
	s_addc_u32 s3, s3, 0
	s_and_b32 s80, s2, 0x3ffffff
	s_lshl_b64 s[0:1], s[0:1], 6
	s_lshr_b64 s[2:3], s[2:3], 26
	s_add_u32 s0, s0, s14
	s_addc_u32 s1, s1, 0
	s_add_u32 s0, s0, s2
	s_addc_u32 s1, s1, s3
	s_lshr_b64 s[2:3], s[0:1], 26
	v_readlane_b32 s23, v15, 10
	s_add_i32 s59, s2, s28
	s_mul_hi_u32 s2, s92, s44
	s_and_b32 s60, s0, 0x3ffffff
	s_mul_i32 s0, s94, s44
	s_mul_i32 s20, s75, s23
	;; [unrolled: 1-line block ×3, first 2 shown]
	s_add_i32 s2, s2, s0
	s_mul_hi_u32 s8, s75, s23
	s_mul_hi_u32 s4, s76, s30
	s_add_u32 s0, s1, s20
	s_addc_u32 s1, s4, s8
	s_mul_i32 s4, s77, s64
	s_add_u32 s0, s0, s4
	s_mul_hi_u32 s4, s77, s64
	s_addc_u32 s1, s1, s4
	s_mul_i32 s4, s78, s39
	s_add_u32 s0, s0, s4
	s_mul_hi_u32 s4, s78, s39
	;; [unrolled: 4-line block ×3, first 2 shown]
	v_readlane_b32 s26, v15, 9
	s_addc_u32 s1, s1, s4
	s_mul_i32 s4, s89, s26
	s_add_u32 s0, s0, s4
	s_mul_hi_u32 s4, s89, s26
	v_readlane_b32 s27, v15, 6
	s_addc_u32 s1, s1, s4
	s_mul_i32 s4, s93, s27
	s_add_u32 s0, s0, s4
	s_mul_hi_u32 s4, s93, s27
	s_addc_u32 s1, s1, s4
	s_mul_i32 s4, s90, s34
	s_add_u32 s0, s0, s4
	s_mul_hi_u32 s4, s90, s34
	;; [unrolled: 4-line block ×3, first 2 shown]
	s_addc_u32 s1, s1, s4
	s_mul_i32 s4, s92, s44
	s_add_u32 s0, s0, s4
	s_addc_u32 s1, s1, s2
	s_mul_hi_u32 s2, s92, s38
	s_mul_i32 s4, s94, s38
	s_mul_i32 s6, s75, s44
	;; [unrolled: 1-line block ×3, first 2 shown]
	s_add_i32 s2, s2, s4
	s_and_b32 s83, s0, 0x3ffffff
	s_lshr_b64 s[0:1], s[0:1], 26
	s_mul_hi_u32 s7, s75, s44
	s_mul_hi_u32 s3, s76, s23
	s_add_u32 s4, s5, s6
	s_addc_u32 s3, s3, s7
	s_mul_i32 s5, s77, s30
	s_add_u32 s4, s4, s5
	s_mul_hi_u32 s5, s77, s30
	s_addc_u32 s3, s3, s5
	s_mul_i32 s5, s78, s64
	s_add_u32 s4, s4, s5
	s_mul_hi_u32 s5, s78, s64
	;; [unrolled: 4-line block ×6, first 2 shown]
	s_addc_u32 s3, s3, s5
	s_mul_i32 s5, s92, s38
	s_add_u32 s4, s4, s5
	s_addc_u32 s2, s3, s2
	s_add_u32 s0, s4, s0
	s_addc_u32 s1, s2, s1
	s_and_b32 s10, s0, 0x3ffffff
	s_mul_i32 s2, s90, s27
	s_lshr_b64 s[0:1], s[0:1], 26
	s_mul_i32 s4, s10, 0x3d10
	s_mul_hi_u32 s5, s90, s27
	s_mul_hi_u32 s3, s10, 0x3d10
	s_add_u32 s2, s4, s2
	s_mov_b32 s11, s25
	s_addc_u32 s3, s3, s5
	s_mul_hi_u32 s4, s92, s34
	s_mul_i32 s5, s94, s34
	s_mul_i32 s22, s75, s38
	;; [unrolled: 1-line block ×3, first 2 shown]
	s_add_i32 s7, s4, s5
	s_and_b32 s84, s2, 0x3ffffff
	s_lshl_b64 s[4:5], s[10:11], 10
	s_lshr_b64 s[2:3], s[2:3], 26
	s_mul_hi_u32 s21, s75, s38
	s_add_u32 s6, s6, s22
	s_mul_hi_u32 s8, s76, s44
	s_addc_u32 s8, s8, s21
	s_mul_i32 s10, s77, s23
	s_add_u32 s6, s6, s10
	s_mul_hi_u32 s10, s77, s23
	s_addc_u32 s8, s8, s10
	s_mul_i32 s10, s78, s30
	;; [unrolled: 4-line block ×6, first 2 shown]
	s_add_u32 s6, s6, s10
	s_addc_u32 s7, s8, s7
	s_add_u32 s0, s6, s0
	s_addc_u32 s1, s7, s1
	s_mul_i32 s7, s90, s26
	s_mul_i32 s8, s91, s27
	s_and_b32 s12, s0, 0x3ffffff
	s_lshr_b64 s[10:11], s[0:1], 26
	s_mul_hi_u32 s6, s90, s26
	s_add_u32 s0, s8, s7
	s_mul_hi_u32 s1, s91, s27
	s_addc_u32 s1, s1, s6
	s_add_u32 s0, s0, s4
	s_addc_u32 s1, s1, s5
	s_add_u32 s0, s0, s2
	s_addc_u32 s1, s1, s3
	s_mul_i32 s3, s12, 0x3d10
	s_mul_hi_u32 s2, s12, 0x3d10
	s_add_u32 s0, s0, s3
	s_mov_b32 s13, s25
	s_addc_u32 s1, s1, s2
	s_mul_hi_u32 s2, s92, s27
	s_mul_i32 s3, s94, s27
	s_mul_i32 s8, s75, s34
	;; [unrolled: 1-line block ×3, first 2 shown]
	s_add_i32 s20, s2, s3
	s_and_b32 s85, s0, 0x3ffffff
	s_lshl_b64 s[6:7], s[12:13], 10
	s_lshr_b64 s[0:1], s[0:1], 26
	s_mul_hi_u32 s14, s75, s34
	s_mul_hi_u32 s5, s76, s38
	s_add_u32 s2, s4, s8
	s_mul_i32 s3, s77, s44
	s_addc_u32 s4, s5, s14
	s_mul_hi_u32 s5, s77, s44
	s_add_u32 s2, s2, s3
	s_mul_i32 s3, s78, s23
	s_addc_u32 s4, s4, s5
	;; [unrolled: 4-line block ×5, first 2 shown]
	s_mul_hi_u32 s5, s93, s39
	s_add_u32 s2, s2, s3
	s_addc_u32 s3, s4, s5
	s_add_u32 s2, s2, s10
	s_addc_u32 s3, s3, s11
	s_mul_i32 s8, s90, s45
	s_mul_i32 s11, s91, s26
	s_and_b32 s14, s2, 0x3ffffff
	s_lshr_b64 s[4:5], s[2:3], 26
	s_mul_hi_u32 s10, s90, s45
	s_mul_hi_u32 s12, s91, s26
	s_add_u32 s2, s11, s8
	s_mul_i32 s3, s92, s27
	s_addc_u32 s8, s12, s10
	s_add_u32 s2, s2, s3
	s_addc_u32 s8, s8, s20
	s_add_u32 s2, s2, s6
	s_addc_u32 s6, s8, s7
	s_mul_i32 s7, s14, 0x3d10
	s_add_u32 s2, s2, s7
	s_mul_hi_u32 s7, s14, 0x3d10
	s_addc_u32 s6, s6, s7
	s_add_u32 s0, s2, s0
	s_mov_b32 s15, s25
	s_addc_u32 s1, s6, s1
	s_mul_hi_u32 s6, s92, s26
	s_mul_i32 s7, s94, s26
	s_mul_i32 s10, s76, s34
	;; [unrolled: 1-line block ×3, first 2 shown]
	s_add_i32 s11, s6, s7
	s_and_b32 s86, s0, 0x3ffffff
	s_lshl_b64 s[6:7], s[14:15], 10
	s_lshr_b64 s[0:1], s[0:1], 26
	s_mul_hi_u32 s8, s76, s34
	s_add_u32 s2, s2, s10
	s_mul_hi_u32 s10, s77, s38
	s_addc_u32 s8, s10, s8
	s_mul_i32 s10, s78, s44
	s_add_u32 s2, s2, s10
	s_mul_hi_u32 s10, s78, s44
	s_addc_u32 s8, s8, s10
	s_mul_i32 s10, s88, s23
	;; [unrolled: 4-line block ×4, first 2 shown]
	s_add_u32 s2, s2, s10
	s_mul_hi_u32 s10, s93, s64
	s_addc_u32 s8, s8, s10
	s_add_u32 s4, s2, s4
	s_addc_u32 s5, s8, s5
	s_mul_i32 s2, s75, s27
	s_mul_i32 s10, s90, s39
	s_and_b32 s28, s4, 0x3ffffff
	s_lshr_b64 s[14:15], s[4:5], 26
	s_mul_hi_u32 s8, s75, s27
	s_add_u32 s2, s10, s2
	s_mul_hi_u32 s4, s90, s39
	s_addc_u32 s4, s4, s8
	s_mul_i32 s5, s91, s45
	s_add_u32 s2, s2, s5
	s_mul_hi_u32 s5, s91, s45
	s_addc_u32 s4, s4, s5
	s_mul_i32 s5, s92, s26
	s_add_u32 s2, s2, s5
	s_addc_u32 s4, s4, s11
	s_add_u32 s2, s2, s6
	s_addc_u32 s4, s4, s7
	s_mul_i32 s5, s28, 0x3d10
	s_add_u32 s2, s2, s5
	s_mul_hi_u32 s5, s28, 0x3d10
	s_addc_u32 s4, s4, s5
	s_add_u32 s0, s2, s0
	s_mov_b32 s29, s25
	s_addc_u32 s1, s4, s1
	s_mul_hi_u32 s4, s92, s45
	s_mul_i32 s5, s94, s45
	s_mul_i32 s8, s77, s34
	;; [unrolled: 1-line block ×3, first 2 shown]
	s_add_i32 s20, s4, s5
	s_and_b32 s12, s0, 0x3ffffff
	s_lshl_b64 s[10:11], s[28:29], 10
	s_lshr_b64 s[4:5], s[0:1], 26
	s_mul_hi_u32 s6, s77, s34
	s_add_u32 s0, s2, s8
	s_mul_hi_u32 s1, s78, s38
	s_addc_u32 s1, s1, s6
	s_mul_i32 s2, s88, s44
	s_add_u32 s0, s0, s2
	s_mul_hi_u32 s2, s88, s44
	s_addc_u32 s1, s1, s2
	s_mul_i32 s2, s89, s23
	;; [unrolled: 4-line block ×3, first 2 shown]
	s_add_u32 s0, s0, s2
	s_mul_hi_u32 s2, s93, s30
	s_addc_u32 s1, s1, s2
	s_add_u32 s0, s0, s14
	s_addc_u32 s1, s1, s15
	s_mul_i32 s13, s75, s26
	s_mul_i32 s14, s76, s27
	s_and_b32 s8, s0, 0x3ffffff
	s_lshr_b64 s[6:7], s[0:1], 26
	s_mul_hi_u32 s2, s75, s26
	s_mul_hi_u32 s15, s76, s27
	s_add_u32 s0, s14, s13
	s_mul_i32 s1, s90, s64
	s_addc_u32 s2, s15, s2
	s_mul_hi_u32 s13, s90, s64
	s_add_u32 s0, s0, s1
	s_mul_i32 s1, s91, s39
	s_addc_u32 s2, s2, s13
	;; [unrolled: 4-line block ×3, first 2 shown]
	s_add_u32 s0, s0, s1
	s_addc_u32 s2, s2, s20
	s_add_u32 s0, s0, s10
	s_addc_u32 s2, s2, s11
	s_mul_i32 s11, s8, 0x3d10
	s_add_u32 s0, s0, s11
	s_mul_hi_u32 s11, s8, 0x3d10
	s_addc_u32 s2, s2, s11
	s_add_u32 s4, s0, s4
	s_mov_b32 s9, s25
	s_addc_u32 s5, s2, s5
	s_mul_hi_u32 s2, s92, s39
	s_mul_i32 s11, s94, s39
	s_mul_i32 s13, s78, s34
	;; [unrolled: 1-line block ×3, first 2 shown]
	s_add_i32 s11, s2, s11
	s_and_b32 s14, s4, 0x3ffffff
	s_lshl_b64 s[8:9], s[8:9], 10
	s_lshr_b64 s[4:5], s[4:5], 26
	s_mul_hi_u32 s10, s78, s34
	s_add_u32 s0, s0, s13
	s_mul_hi_u32 s2, s88, s38
	s_addc_u32 s2, s2, s10
	s_mul_i32 s10, s89, s44
	s_add_u32 s0, s0, s10
	s_mul_hi_u32 s10, s89, s44
	s_addc_u32 s2, s2, s10
	s_mul_i32 s10, s93, s23
	s_add_u32 s0, s0, s10
	s_mul_hi_u32 s10, s93, s23
	s_addc_u32 s2, s2, s10
	s_add_u32 s6, s0, s6
	s_addc_u32 s7, s2, s7
	s_mul_i32 s0, s75, s45
	s_mul_i32 s13, s76, s26
	s_and_b32 s2, s6, 0x3ffffff
	s_lshr_b64 s[20:21], s[6:7], 26
	s_mul_hi_u32 s10, s75, s45
	s_add_u32 s0, s13, s0
	s_mul_hi_u32 s6, s76, s26
	s_addc_u32 s6, s6, s10
	s_mul_i32 s7, s77, s27
	s_add_u32 s0, s0, s7
	s_mul_hi_u32 s7, s77, s27
	s_addc_u32 s6, s6, s7
	s_mul_i32 s7, s90, s30
	;; [unrolled: 4-line block ×4, first 2 shown]
	s_add_u32 s0, s0, s7
	s_addc_u32 s6, s6, s11
	s_add_u32 s0, s0, s8
	s_addc_u32 s6, s6, s9
	s_mul_i32 s7, s2, 0x3d10
	s_add_u32 s0, s0, s7
	s_mul_hi_u32 s7, s2, 0x3d10
	s_addc_u32 s6, s6, s7
	s_add_u32 s4, s0, s4
	s_mov_b32 s3, s25
	s_addc_u32 s5, s6, s5
	s_mul_hi_u32 s8, s92, s64
	s_mul_i32 s6, s94, s64
	s_mul_i32 s11, s88, s34
	s_mul_i32 s0, s89, s38
	s_add_i32 s8, s8, s6
	s_lshl_b64 s[6:7], s[2:3], 10
	s_and_b32 s10, s4, 0x3ffffff
	s_lshr_b64 s[2:3], s[4:5], 26
	s_mul_hi_u32 s9, s88, s34
	s_add_u32 s0, s0, s11
	s_mul_hi_u32 s4, s89, s38
	s_addc_u32 s4, s4, s9
	s_mul_i32 s5, s93, s44
	s_add_u32 s0, s0, s5
	s_mul_hi_u32 s5, s93, s44
	s_addc_u32 s5, s4, s5
	s_add_u32 s4, s0, s20
	s_addc_u32 s5, s5, s21
	s_mul_i32 s13, s75, s39
	s_mul_i32 s11, s76, s45
	s_and_b32 s0, s4, 0x3ffffff
	s_lshr_b64 s[4:5], s[4:5], 26
	s_mul_hi_u32 s9, s75, s39
	s_mul_hi_u32 s15, s76, s45
	s_add_u32 s11, s11, s13
	s_mul_i32 s13, s77, s26
	s_addc_u32 s9, s15, s9
	s_mul_hi_u32 s15, s77, s26
	s_add_u32 s11, s11, s13
	s_mul_i32 s13, s78, s27
	s_addc_u32 s9, s9, s15
	;; [unrolled: 4-line block ×5, first 2 shown]
	s_add_u32 s11, s11, s20
	s_addc_u32 s8, s13, s8
	s_add_u32 s6, s11, s6
	s_addc_u32 s7, s8, s7
	s_mul_i32 s11, s0, 0x3d10
	s_add_u32 s6, s6, s11
	s_mul_hi_u32 s11, s0, 0x3d10
	s_addc_u32 s7, s7, s11
	s_add_u32 s6, s6, s2
	s_mov_b32 s1, s25
	s_addc_u32 s7, s7, s3
	s_mul_hi_u32 s2, s92, s30
	s_mul_i32 s11, s94, s30
	s_mul_i32 s13, s89, s34
	;; [unrolled: 1-line block ×3, first 2 shown]
	s_add_i32 s11, s2, s11
	s_lshl_b64 s[20:21], s[0:1], 10
	s_and_b32 s2, s6, 0x3ffffff
	s_lshr_b64 s[6:7], s[6:7], 26
	s_mul_hi_u32 s8, s89, s34
	s_add_u32 s0, s3, s13
	s_mul_hi_u32 s1, s93, s38
	s_addc_u32 s1, s1, s8
	s_add_u32 s0, s0, s4
	s_addc_u32 s1, s1, s5
	s_mul_i32 s3, s75, s64
	s_mul_i32 s5, s76, s39
	s_and_b32 s8, s0, 0x3ffffff
	s_lshr_b64 s[0:1], s[0:1], 26
	s_mul_hi_u32 s4, s75, s64
	s_add_u32 s3, s5, s3
	s_mul_hi_u32 s5, s76, s39
	s_addc_u32 s4, s5, s4
	s_mul_i32 s5, s77, s45
	s_add_u32 s3, s3, s5
	s_mul_hi_u32 s5, s77, s45
	s_addc_u32 s4, s4, s5
	s_mul_i32 s5, s78, s26
	;; [unrolled: 4-line block ×6, first 2 shown]
	s_add_u32 s3, s3, s5
	s_addc_u32 s4, s4, s11
	s_add_u32 s3, s3, s20
	s_addc_u32 s4, s4, s21
	s_mul_i32 s5, s8, 0x3d10
	s_mul_hi_u32 s11, s8, 0x3d10
	s_add_u32 s3, s3, s5
	s_addc_u32 s4, s4, s11
	s_add_u32 s20, s3, s6
	s_mov_b32 s9, s25
	s_addc_u32 s21, s4, s7
	s_mul_hi_u32 s6, s92, s23
	s_mul_i32 s94, s94, s23
	s_mul_hi_u32 s3, s93, s34
	s_mul_i32 s93, s93, s34
	s_add_i32 s6, s6, s94
	s_lshl_b64 s[36:37], s[8:9], 10
	s_and_b32 s4, s20, 0x3ffffff
	s_lshr_b64 s[34:35], s[20:21], 26
	s_add_u32 s0, s0, s93
	s_addc_u32 s1, s1, s3
	s_mul_hi_u32 s7, s75, s30
	s_mul_i32 s75, s75, s30
	s_mul_hi_u32 s11, s76, s64
	s_mul_i32 s76, s76, s64
	;; [unrolled: 2-line block ×4, first 2 shown]
	s_and_b32 s30, s0, 0x3ffffff
	s_lshr_b64 s[38:39], s[0:1], 26
	s_add_u32 s0, s76, s75
	s_addc_u32 s1, s11, s7
	s_add_u32 s0, s0, s77
	s_mul_hi_u32 s9, s78, s45
	s_mul_i32 s78, s78, s45
	s_addc_u32 s1, s1, s20
	s_add_u32 s0, s0, s78
	s_mul_hi_u32 s5, s88, s26
	s_mul_i32 s88, s88, s26
	;; [unrolled: 4-line block ×3, first 2 shown]
	s_addc_u32 s1, s1, s5
	s_add_u32 s0, s0, s89
	s_addc_u32 s1, s1, s3
	s_add_u32 s0, s0, s90
	s_mul_hi_u32 s8, s91, s44
	s_mul_i32 s91, s91, s44
	s_addc_u32 s20, s1, s28
	s_add_u32 s0, s0, s91
	s_mul_i32 s92, s92, s23
	s_addc_u32 s8, s20, s8
	s_add_u32 s0, s0, s92
	s_addc_u32 s6, s8, s6
	s_add_u32 s0, s0, s36
	s_addc_u32 s6, s6, s37
	s_mul_i32 s8, s30, 0x3d10
	s_add_u32 s0, s0, s8
	s_mul_hi_u32 s8, s30, 0x3d10
	s_addc_u32 s6, s6, s8
	s_add_u32 s20, s0, s34
	s_mov_b32 s31, s25
	s_addc_u32 s21, s6, s35
	s_mul_i32 s0, s38, 0x3d10
	s_and_b32 s34, s20, 0x3ffffff
	s_lshl_b64 s[22:23], s[30:31], 10
	s_lshr_b64 s[20:21], s[20:21], 26
	s_add_u32 s0, s0, s83
	s_mul_hi_u32 s6, s38, 0x3d10
	s_addc_u32 s6, s6, 0
	s_add_u32 s0, s0, s22
	s_addc_u32 s6, s6, s23
	s_add_u32 s20, s0, s20
	s_addc_u32 s21, s6, s21
	s_and_b32 s44, s20, 0x3fffff
	s_lshl_b64 s[22:23], s[38:39], 14
	s_lshr_b64 s[20:21], s[20:21], 22
	s_add_u32 s20, s20, s22
	s_addc_u32 s21, s21, s23
	s_mul_hi_u32 s0, s20, 0x3d1
	s_mul_i32 s6, s21, 0x3d1
	s_add_i32 s0, s0, s6
	s_mul_i32 s6, s20, 0x3d1
	s_add_u32 s22, s6, s84
	s_addc_u32 s23, s0, 0
	s_and_b32 s0, s22, 0x3ffffff
	s_lshl_b64 s[20:21], s[20:21], 6
	s_lshr_b64 s[22:23], s[22:23], 26
	s_add_u32 s6, s20, s85
	s_addc_u32 s8, s21, 0
	s_add_u32 s30, s6, s22
	s_addc_u32 s31, s8, s23
	v_readlane_b32 s66, v15, 18
	s_lshr_b64 s[20:21], s[30:31], 26
	s_sub_i32 s12, s17, s12
	s_sub_i32 s10, s16, s10
	;; [unrolled: 1-line block ×3, first 2 shown]
	s_mul_i32 s2, s72, s47
	s_mul_hi_u32 s17, s72, s46
	s_add_i32 s38, s20, s86
	s_and_b32 s39, s30, 0x3ffffff
	s_mul_hi_u32 s22, s43, s66
	s_add_i32 s17, s17, s2
	s_mul_i32 s2, s73, s66
	v_readlane_b32 s61, v15, 19
	v_readlane_b32 s79, v15, 20
	s_sub_i32 s45, s80, s0
	s_sub_i32 s14, s19, s14
	;; [unrolled: 1-line block ×4, first 2 shown]
	s_mul_i32 s20, s63, s49
	s_sub_i32 s21, s58, s44
	s_add_i32 s22, s22, s2
	s_mul_hi_u32 s2, s63, s48
	s_sub_i32 s23, s60, s39
	s_sub_i32 s27, s59, s38
	s_mul_i32 s88, s74, s61
	s_add_i32 s20, s2, s20
	s_mul_i32 s41, s69, s79
	s_add_i32 s34, s45, 0xffff0bc
	s_add_i32 s38, s12, 0xffffffc
	;; [unrolled: 1-line block ×4, first 2 shown]
	s_add_i32 vcc_lo, s16, 0xffffffc
	s_add_i32 s64, s4, 0xffffffc
	s_add_i32 s93, s18, 0xffffffc
	;; [unrolled: 1-line block ×4, first 2 shown]
	s_add_i32 vcc_hi, s27, 0xffffffc
	v_readlane_b32 s81, v15, 21
	s_mul_hi_u32 s87, s74, s61
	s_mul_hi_u32 s26, s69, s79
	s_add_u32 s4, s41, s88
	s_addc_u32 s12, s26, s87
	s_mul_i32 s14, s70, s81
	v_readlane_b32 s82, v15, 22
	s_add_u32 s4, s4, s14
	s_mul_hi_u32 s14, s70, s81
	s_addc_u32 s12, s12, s14
	s_mul_i32 s14, s71, s82
	s_add_u32 s4, s4, s14
	s_mul_hi_u32 s14, s71, s82
	s_addc_u32 s12, s12, s14
	s_mul_i32 s14, s72, s46
	v_readlane_b32 s84, v15, 25
	s_add_u32 s4, s4, s14
	s_addc_u32 s12, s12, s17
	s_mul_i32 s16, s40, s84
	v_readlane_b32 s83, v15, 26
	s_mul_hi_u32 s14, s40, s84
	s_add_u32 s4, s4, s16
	s_addc_u32 s12, s12, s14
	s_mul_i32 s14, s24, s83
	s_add_u32 s4, s4, s14
	s_mul_hi_u32 s14, s24, s83
	s_addc_u32 s12, s12, s14
	s_mul_i32 s14, s63, s48
	v_readlane_b32 s89, v15, 7
	s_add_u32 s4, s4, s14
	s_addc_u32 s12, s12, s20
	s_mul_i32 s17, s42, s89
	s_add_u32 s4, s4, s17
	s_mul_hi_u32 s17, s42, s89
	s_addc_u32 s12, s12, s17
	s_mul_i32 s17, s43, s66
	s_mul_i32 s16, s40, s47
	s_mul_hi_u32 s14, s40, s46
	s_add_u32 s20, s4, s17
	s_addc_u32 s21, s12, s22
	s_mul_hi_u32 s12, s43, s89
	s_add_i32 s14, s14, s16
	s_mul_i32 s16, s73, s89
	s_mul_i32 s4, s42, s49
	s_add_i32 s12, s12, s16
	s_mul_hi_u32 s16, s42, s48
	s_mul_i32 s57, s74, s66
	s_mul_i32 s10, s69, s61
	s_add_i32 s4, s16, s4
	s_and_b32 s16, s20, 0x3ffffff
	s_lshr_b64 s[20:21], s[20:21], 26
	s_mul_hi_u32 s28, s74, s66
	s_add_u32 s10, s10, s57
	s_mul_hi_u32 s17, s69, s61
	s_addc_u32 s17, s17, s28
	s_mul_i32 s18, s70, s79
	s_add_u32 s10, s10, s18
	s_mul_hi_u32 s18, s70, s79
	s_addc_u32 s17, s17, s18
	s_mul_i32 s18, s71, s81
	;; [unrolled: 4-line block ×4, first 2 shown]
	s_add_u32 s10, s10, s18
	s_addc_u32 s14, s17, s14
	s_mul_i32 s17, s24, s84
	s_add_u32 s10, s10, s17
	s_mul_hi_u32 s17, s24, s84
	s_addc_u32 s14, s14, s17
	s_mul_i32 s17, s42, s48
	s_add_u32 s10, s10, s17
	s_addc_u32 s4, s14, s4
	s_mul_i32 s14, s43, s89
	s_add_u32 s10, s10, s14
	s_addc_u32 s4, s4, s12
	s_add_u32 s20, s10, s20
	s_addc_u32 s21, s4, s21
	s_and_b32 s28, s20, 0x3ffffff
	s_mul_i32 s4, s63, s83
	s_lshr_b64 s[20:21], s[20:21], 26
	s_mul_i32 s12, s28, 0x3d10
	s_mul_hi_u32 s14, s63, s83
	s_mul_hi_u32 s10, s28, 0x3d10
	s_add_u32 s22, s12, s4
	s_addc_u32 s23, s10, s14
	s_mul_i32 s10, s43, s49
	s_mul_hi_u32 s12, s43, s48
	s_mul_i32 s17, s24, s47
	s_mul_hi_u32 s4, s24, s46
	s_add_i32 s10, s12, s10
	s_mul_i32 s12, s73, s48
	s_mul_i32 s35, s74, s89
	;; [unrolled: 1-line block ×3, first 2 shown]
	s_add_i32 s4, s4, s17
	s_add_i32 s10, s10, s12
	s_and_b32 s17, s22, 0x3ffffff
	s_lshl_b64 s[26:27], s[28:29], 10
	s_lshr_b64 s[28:29], s[22:23], 26
	s_mul_hi_u32 s67, s74, s89
	s_add_u32 s12, s18, s35
	s_mul_hi_u32 s14, s69, s66
	s_addc_u32 s14, s14, s67
	s_mul_i32 s18, s70, s61
	s_add_u32 s12, s12, s18
	s_mul_hi_u32 s18, s70, s61
	s_addc_u32 s14, s14, s18
	s_mul_i32 s18, s71, s79
	;; [unrolled: 4-line block ×5, first 2 shown]
	s_add_u32 s12, s12, s18
	s_addc_u32 s4, s14, s4
	s_mul_i32 s14, s43, s48
	s_add_u32 s12, s12, s14
	s_addc_u32 s4, s4, s10
	s_add_u32 s20, s12, s20
	s_addc_u32 s21, s4, s21
	s_mul_i32 s10, s63, s84
	s_mul_i32 s14, s42, s83
	s_and_b32 s12, s20, 0x3ffffff
	s_lshr_b64 s[20:21], s[20:21], 26
	s_mul_hi_u32 s4, s63, s84
	s_add_u32 s10, s14, s10
	s_mul_hi_u32 s14, s42, s83
	s_addc_u32 s4, s14, s4
	s_add_u32 s10, s10, s26
	s_addc_u32 s4, s4, s27
	s_add_u32 s10, s10, s28
	s_addc_u32 s4, s4, s29
	s_mul_i32 s22, s12, 0x3d10
	s_mul_hi_u32 s18, s12, 0x3d10
	s_add_u32 s22, s10, s22
	s_addc_u32 s23, s4, s18
	s_mul_hi_u32 s4, s43, s83
	s_mul_i32 s10, s73, s83
	s_mov_b32 s13, s25
	s_mul_i32 s37, s74, s49
	s_mul_hi_u32 s77, s74, s48
	s_mul_i32 s14, s63, s47
	s_add_i32 s4, s4, s10
	s_mul_hi_u32 s10, s63, s46
	s_mul_i32 s76, s74, s48
	s_add_i32 s10, s10, s14
	s_mul_i32 s14, s69, s89
	s_add_i32 s77, s77, s37
	s_and_b32 s18, s22, 0x3ffffff
	s_lshl_b64 s[12:13], s[12:13], 10
	s_lshr_b64 s[22:23], s[22:23], 26
	s_add_u32 s14, s14, s76
	s_mul_hi_u32 s26, s69, s89
	s_addc_u32 s26, s26, s77
	s_mul_i32 s27, s70, s66
	s_add_u32 s14, s14, s27
	s_mul_hi_u32 s27, s70, s66
	s_addc_u32 s26, s26, s27
	s_mul_i32 s27, s71, s61
	;; [unrolled: 4-line block ×5, first 2 shown]
	s_add_u32 s14, s14, s27
	s_mul_hi_u32 s27, s24, s82
	s_addc_u32 s26, s26, s27
	s_add_u32 s20, s14, s20
	s_addc_u32 s21, s26, s21
	s_mul_i32 s27, s63, s46
	s_mul_i32 s28, s42, s84
	s_and_b32 s14, s20, 0x3ffffff
	s_lshr_b64 s[20:21], s[20:21], 26
	s_add_u32 s27, s28, s27
	s_mul_hi_u32 s28, s42, s84
	s_addc_u32 s10, s28, s10
	s_mul_i32 s28, s43, s83
	s_add_u32 s27, s27, s28
	s_addc_u32 s4, s10, s4
	s_add_u32 s12, s27, s12
	s_addc_u32 s4, s4, s13
	s_mul_i32 s13, s14, 0x3d10
	s_add_u32 s12, s12, s13
	s_mul_hi_u32 s13, s14, 0x3d10
	s_addc_u32 s4, s4, s13
	s_add_u32 s12, s12, s22
	s_addc_u32 s13, s4, s23
	s_mul_hi_u32 s22, s43, s84
	s_mul_i32 s23, s73, s84
	s_mov_b32 s15, s25
	s_mul_i32 s26, s69, s49
	s_mul_hi_u32 s28, s69, s48
	s_mul_i32 s4, s42, s47
	s_add_i32 s22, s22, s23
	s_mul_hi_u32 s23, s42, s46
	s_mul_i32 s10, s69, s48
	s_add_i32 s23, s23, s4
	s_mul_i32 s4, s70, s89
	s_add_i32 s28, s28, s26
	s_and_b32 s67, s12, 0x3ffffff
	s_lshl_b64 s[14:15], s[14:15], 10
	s_lshr_b64 s[12:13], s[12:13], 26
	s_add_u32 s4, s4, s10
	s_mul_hi_u32 s10, s70, s89
	s_addc_u32 s10, s10, s28
	s_mul_i32 s26, s71, s66
	s_add_u32 s4, s4, s26
	s_mul_hi_u32 s26, s71, s66
	s_addc_u32 s10, s10, s26
	s_mul_i32 s26, s72, s61
	s_add_u32 s4, s4, s26
	s_mul_hi_u32 s26, s72, s61
	s_addc_u32 s10, s10, s26
	s_mul_i32 s26, s40, s79
	s_add_u32 s4, s4, s26
	s_mul_hi_u32 s26, s40, s79
	s_addc_u32 s10, s10, s26
	s_mul_i32 s26, s24, s81
	s_add_u32 s4, s4, s26
	s_mul_hi_u32 s26, s24, s81
	s_addc_u32 s10, s10, s26
	s_add_u32 s20, s4, s20
	s_addc_u32 s21, s10, s21
	s_mul_i32 s36, s74, s83
	s_mul_i32 s28, s63, s82
	s_and_b32 s10, s20, 0x3ffffff
	s_lshr_b64 s[20:21], s[20:21], 26
	s_mul_hi_u32 s6, s74, s83
	s_add_u32 s28, s28, s36
	s_mul_hi_u32 s29, s63, s82
	s_addc_u32 s6, s29, s6
	s_mul_i32 s29, s42, s46
	s_add_u32 s29, s28, s29
	s_addc_u32 s6, s6, s23
	s_mul_i32 s23, s43, s84
	s_add_u32 s23, s29, s23
	s_addc_u32 s6, s6, s22
	s_add_u32 s14, s23, s14
	s_addc_u32 s6, s6, s15
	s_mul_i32 s23, s10, 0x3d10
	s_add_u32 s14, s14, s23
	s_mul_hi_u32 s23, s10, 0x3d10
	s_addc_u32 s6, s6, s23
	s_mul_i32 s22, s70, s49
	s_mul_hi_u32 s15, s70, s48
	s_add_u32 s12, s14, s12
	s_mul_i32 s14, s43, s47
	s_mul_hi_u32 s23, s43, s46
	s_mov_b32 s11, s25
	s_addc_u32 s13, s6, s13
	s_add_i32 s14, s23, s14
	s_add_i32 s22, s15, s22
	s_mul_i32 s15, s73, s46
	s_mov_b32 s41, s83
	s_mul_i32 s27, s69, s83
	s_mul_hi_u32 s26, s69, s83
	s_mul_i32 s6, s70, s48
	s_mul_i32 s23, s71, s89
	s_add_i32 s36, s14, s15
	s_and_b32 s83, s12, 0x3ffffff
	s_lshl_b64 s[14:15], s[10:11], 10
	s_lshr_b64 s[10:11], s[12:13], 26
	s_add_u32 s6, s23, s6
	s_mul_hi_u32 s12, s71, s89
	s_addc_u32 s12, s12, s22
	s_mul_i32 s13, s72, s66
	s_add_u32 s6, s6, s13
	s_mul_hi_u32 s13, s72, s66
	s_addc_u32 s12, s12, s13
	s_mul_i32 s13, s40, s61
	;; [unrolled: 4-line block ×3, first 2 shown]
	s_add_u32 s6, s6, s13
	s_mul_hi_u32 s13, s24, s79
	s_addc_u32 s13, s12, s13
	s_add_u32 s12, s6, s20
	s_addc_u32 s13, s13, s21
	s_mul_i32 s30, s74, s84
	s_and_b32 s6, s12, 0x3ffffff
	s_lshr_b64 s[12:13], s[12:13], 26
	s_mul_hi_u32 s31, s74, s84
	s_add_u32 s21, s27, s30
	s_addc_u32 s22, s26, s31
	s_mul_i32 s23, s63, s81
	s_add_u32 s21, s21, s23
	s_mul_hi_u32 s23, s63, s81
	s_addc_u32 s22, s22, s23
	s_mul_i32 s23, s42, s82
	s_add_u32 s21, s21, s23
	s_mul_hi_u32 s23, s42, s82
	s_addc_u32 s22, s22, s23
	s_mul_i32 s23, s43, s46
	s_add_u32 s21, s21, s23
	s_addc_u32 s22, s22, s36
	s_add_u32 s14, s21, s14
	s_addc_u32 s15, s22, s15
	s_mul_i32 s22, s6, 0x3d10
	s_add_u32 s14, s14, s22
	s_mul_hi_u32 s22, s6, 0x3d10
	s_addc_u32 s15, s15, s22
	s_mul_i32 s0, s74, s47
	s_mul_hi_u32 s8, s74, s46
	s_add_u32 s10, s14, s10
	s_mov_b32 s7, s25
	s_mul_i32 s21, s71, s49
	s_addc_u32 s11, s15, s11
	s_mul_hi_u32 s14, s71, s48
	s_mul_hi_u32 s15, s43, s82
	s_add_i32 s0, s8, s0
	s_mul_i32 s8, s73, s82
	s_mov_b32 s51, s84
	s_mul_hi_u32 s4, s69, s84
	s_mul_i32 s28, s69, s84
	s_mul_i32 s22, s71, s48
	s_add_i32 s23, s15, s8
	s_mul_i32 s8, s72, s89
	s_add_i32 s21, s14, s21
	s_and_b32 s84, s10, 0x3ffffff
	s_lshl_b64 s[6:7], s[6:7], 10
	s_lshr_b64 s[14:15], s[10:11], 26
	s_add_u32 s8, s8, s22
	s_mul_hi_u32 s10, s72, s89
	s_addc_u32 s10, s10, s21
	s_mul_i32 s11, s40, s66
	s_add_u32 s8, s8, s11
	s_mul_hi_u32 s11, s40, s66
	s_addc_u32 s10, s10, s11
	s_mul_i32 s11, s24, s61
	s_add_u32 s8, s8, s11
	s_mul_hi_u32 s11, s24, s61
	s_addc_u32 s11, s10, s11
	s_add_u32 s10, s8, s12
	s_addc_u32 s11, s11, s13
	s_mul_i32 s78, s74, s46
	s_and_b32 s8, s10, 0x3ffffff
	s_lshr_b64 s[12:13], s[10:11], 26
	s_add_u32 s10, s28, s78
	s_mul_i32 s21, s70, s41
	s_addc_u32 s0, s4, s0
	s_mul_hi_u32 s22, s70, s41
	s_add_u32 s4, s10, s21
	s_addc_u32 s0, s0, s22
	s_mul_i32 s10, s63, s79
	s_add_u32 s4, s4, s10
	s_mul_hi_u32 s10, s63, s79
	s_addc_u32 s0, s0, s10
	s_mul_i32 s10, s42, s81
	s_add_u32 s4, s4, s10
	s_mul_hi_u32 s10, s42, s81
	s_addc_u32 s0, s0, s10
	s_mul_i32 s10, s43, s82
	s_add_u32 s4, s4, s10
	s_addc_u32 s0, s0, s23
	s_add_u32 s4, s4, s6
	s_addc_u32 s0, s0, s7
	s_mul_i32 s6, s8, 0x3d10
	s_add_u32 s4, s4, s6
	s_mul_hi_u32 s6, s8, 0x3d10
	s_addc_u32 s0, s0, s6
	s_add_u32 s6, s4, s14
	s_mov_b32 s9, s25
	s_mul_i32 s29, s69, s47
	s_mul_hi_u32 s20, s69, s46
	s_mul_i32 s23, s72, s49
	s_addc_u32 s7, s0, s15
	s_mul_hi_u32 s0, s72, s48
	s_mul_hi_u32 s14, s43, s81
	s_mul_i32 s15, s73, s81
	s_mul_hi_u32 s19, s74, s82
	s_mul_i32 s2, s74, s82
	;; [unrolled: 2-line block ×4, first 2 shown]
	s_mov_b32 s35, s74
	s_mul_hi_u32 s57, s69, s82
	s_mul_i32 s74, s69, s82
	s_mul_hi_u32 s10, s70, s82
	s_mul_i32 s11, s70, s82
	s_mul_i32 s4, s72, s48
	s_add_i32 s20, s20, s29
	s_add_i32 s28, s14, s15
	s_mul_i32 s29, s40, s89
	s_add_i32 s0, s0, s23
	s_and_b32 s82, s6, 0x3ffffff
	s_lshl_b64 s[14:15], s[8:9], 10
	s_lshr_b64 s[8:9], s[6:7], 26
	s_add_u32 s4, s29, s4
	s_mul_hi_u32 s6, s40, s89
	s_addc_u32 s0, s6, s0
	s_mul_i32 s6, s24, s66
	s_add_u32 s4, s4, s6
	s_mul_hi_u32 s6, s24, s66
	s_addc_u32 s0, s0, s6
	s_add_u32 s6, s4, s12
	s_addc_u32 s7, s0, s13
	s_mul_i32 s50, s69, s46
	s_and_b32 s4, s6, 0x3ffffff
	s_lshr_b64 s[6:7], s[6:7], 26
	s_add_u32 s2, s50, s2
	s_mul_i32 s21, s70, s51
	s_addc_u32 s19, s20, s19
	s_mov_b32 s76, s41
	s_mul_hi_u32 s22, s70, s51
	s_add_u32 s2, s2, s21
	s_mul_i32 s23, s71, s76
	s_addc_u32 s19, s19, s22
	s_mul_hi_u32 s29, s71, s76
	s_add_u32 s2, s2, s23
	s_addc_u32 s19, s19, s29
	s_mul_i32 s29, s63, s61
	s_add_u32 s2, s2, s29
	s_mul_hi_u32 s29, s63, s61
	s_addc_u32 s19, s19, s29
	s_mul_i32 s29, s42, s79
	s_add_u32 s2, s2, s29
	s_mul_hi_u32 s29, s42, s79
	s_mul_hi_u32 s30, s69, s81
	s_mul_i32 s31, s69, s81
	s_mov_b32 s36, s69
	s_mul_i32 s0, s71, s47
	s_mul_hi_u32 s12, s71, s46
	s_mul_i32 s13, s71, s46
	s_mul_hi_u32 s69, s71, s51
	s_mul_i32 s20, s71, s51
	s_mov_b32 s50, s71
	s_addc_u32 s19, s19, s29
	s_mul_i32 s71, s43, s81
	s_add_u32 s2, s2, s71
	s_addc_u32 s19, s19, s28
	s_add_u32 s2, s2, s14
	s_mul_i32 s26, s70, s47
	s_mul_hi_u32 s27, s70, s46
	s_mul_i32 s41, s70, s46
	s_mov_b32 s37, s70
	s_mul_hi_u32 s21, s72, s76
	s_mul_i32 s22, s72, s76
	s_mul_hi_u32 s23, s72, s51
	s_mul_i32 s70, s72, s51
	s_mov_b32 s51, s72
	s_addc_u32 s14, s19, s15
	s_mul_i32 s72, s4, 0x3d10
	s_add_u32 s2, s2, s72
	s_mul_hi_u32 s72, s4, 0x3d10
	s_addc_u32 s14, s14, s72
	s_add_u32 s8, s2, s8
	s_mov_b32 s5, s25
	s_mul_i32 s29, s40, s49
	s_mul_hi_u32 s71, s40, s48
	s_addc_u32 s9, s14, s9
	s_mul_hi_u32 s77, s43, s79
	s_add_i32 s27, s27, s26
	s_mul_i32 s26, s73, s79
	s_mul_i32 s28, s40, s48
	s_mul_i32 s2, s24, s89
	s_add_i32 s77, s77, s26
	s_add_i32 s71, s71, s29
	s_and_b32 s46, s8, 0x3ffffff
	s_lshl_b64 s[4:5], s[4:5], 10
	s_lshr_b64 s[8:9], s[8:9], 26
	s_mul_hi_u32 s26, s24, s89
	s_add_u32 s2, s2, s28
	s_addc_u32 s26, s26, s71
	s_add_u32 s6, s2, s6
	s_addc_u32 s7, s26, s7
	s_and_b32 s2, s6, 0x3ffffff
	s_lshr_b64 s[6:7], s[6:7], 26
	s_add_u32 s60, s74, s60
	s_addc_u32 s57, s57, s58
	s_add_u32 s41, s60, s41
	s_addc_u32 s27, s57, s27
	;; [unrolled: 2-line block ×3, first 2 shown]
	s_add_u32 s20, s20, s22
	s_mul_i32 s26, s63, s66
	s_addc_u32 s21, s27, s21
	s_mul_hi_u32 s15, s40, s76
	s_mul_i32 s19, s40, s76
	s_mul_i32 s14, s24, s49
	s_mul_hi_u32 s72, s24, s48
	s_mul_i32 s76, s24, s48
	s_mov_b64 s[28:29], s[24:25]
	s_mul_hi_u32 s24, s63, s66
	s_add_u32 s20, s20, s26
	s_mul_i32 s60, s42, s61
	s_addc_u32 s21, s21, s24
	s_mul_hi_u32 s58, s42, s61
	s_add_u32 s20, s20, s60
	s_mul_i32 s78, s43, s79
	s_addc_u32 s21, s21, s58
	s_add_u32 s20, s20, s78
	s_addc_u32 s21, s21, s77
	s_add_u32 s4, s20, s4
	s_mul_i32 s22, s2, 0x3d10
	s_addc_u32 s5, s21, s5
	s_mul_hi_u32 s69, s2, 0x3d10
	s_add_u32 s4, s4, s22
	s_addc_u32 s5, s5, s69
	s_add_u32 s4, s4, s8
	s_mov_b32 s3, s25
	s_mul_hi_u32 s41, s43, s61
	s_mul_i32 s73, s73, s61
	s_addc_u32 s5, s5, s9
	s_and_b32 s47, s4, 0x3ffffff
	s_lshl_b64 s[2:3], s[2:3], 10
	s_add_i32 s12, s12, s0
	s_add_i32 s41, s41, s73
	;; [unrolled: 1-line block ×3, first 2 shown]
	s_lshr_b64 s[4:5], s[4:5], 26
	s_add_u32 s6, s6, s76
	s_addc_u32 s7, s7, s72
	s_and_b32 s0, s6, 0x3ffffff
	s_lshr_b64 s[8:9], s[6:7], 26
	s_add_u32 s20, s31, s80
	s_addc_u32 s24, s30, s59
	s_add_u32 s11, s20, s11
	s_addc_u32 s10, s24, s10
	;; [unrolled: 2-line block ×4, first 2 shown]
	s_add_u32 s11, s11, s19
	s_mul_i32 s74, s63, s89
	s_addc_u32 s10, s10, s15
	s_mul_hi_u32 s71, s63, s89
	s_add_u32 s11, s11, s74
	s_mul_hi_u32 s57, s42, s66
	s_mul_i32 s66, s42, s66
	s_addc_u32 s10, s10, s71
	s_add_u32 s11, s11, s66
	s_mul_i32 s61, s43, s61
	s_addc_u32 s10, s10, s57
	s_add_u32 s11, s11, s61
	s_addc_u32 s10, s10, s41
	s_add_u32 s2, s11, s2
	s_mul_i32 s14, s0, 0x3d10
	s_addc_u32 s3, s10, s3
	s_mul_hi_u32 s6, s0, 0x3d10
	s_add_u32 s2, s2, s14
	s_addc_u32 s3, s3, s6
	s_add_u32 s2, s2, s4
	s_addc_u32 s3, s3, s5
	s_lshr_b32 s4, s7, 26
	s_mov_b32 s1, s25
	s_mul_hi_u32 s21, s8, 0x3d10
	s_mulk_i32 s4, 0x3d10
	s_mul_i32 s22, s8, 0x3d10
	s_and_b32 s57, s2, 0x3ffffff
	s_lshl_b64 s[0:1], s[0:1], 10
	s_lshr_b64 s[2:3], s[2:3], 26
	s_add_i32 s21, s21, s4
	s_add_u32 s4, s22, s16
	s_addc_u32 s5, s21, 0
	s_add_u32 s0, s4, s0
	s_addc_u32 s1, s5, s1
	;; [unrolled: 2-line block ×3, first 2 shown]
	s_and_b32 s70, s0, 0x3fffff
	s_lshl_b64 s[2:3], s[8:9], 14
	s_lshr_b64 s[0:1], s[0:1], 22
	s_add_u32 s0, s0, s2
	s_addc_u32 s1, s1, s3
	s_mul_hi_u32 s2, s0, 0x3d1
	s_mul_i32 s4, s1, 0x3d1
	s_mul_i32 s3, s0, 0x3d1
	s_add_i32 s4, s2, s4
	s_add_u32 s2, s3, s17
	s_addc_u32 s3, s4, 0
	s_and_b32 s49, s2, 0x3ffffff
	s_lshl_b64 s[0:1], s[0:1], 6
	s_lshr_b64 s[2:3], s[2:3], 26
	s_add_u32 s0, s0, s18
	s_addc_u32 s1, s1, 0
	s_add_u32 s0, s0, s2
	s_addc_u32 s1, s1, s3
	s_and_b32 s48, s0, 0x3ffffff
	s_lshr_b64 s[0:1], s[0:1], 26
	s_add_u32 s94, s0, s67
	v_readlane_b32 s4, v15, 14
	s_addc_u32 s95, s1, 0
	v_readlane_b32 s5, v15, 15
	s_add_u32 s4, s4, 64
	s_addc_u32 s5, s5, 0
	v_readlane_b32 s41, v15, 11
	s_cmpk_eq_i32 s4, 0x7fc0
	s_mov_b32 s71, s25
	s_cbranch_scc0 .LBB0_1
; %bb.2:
	s_lshl_b32 s8, s83, 1
	s_lshl_b32 s16, s84, 1
	;; [unrolled: 1-line block ×5, first 2 shown]
	s_mul_i32 s12, s46, s8
	s_mul_i32 s14, s82, s16
	s_mul_hi_u32 s11, s46, s8
	s_mul_hi_u32 s13, s82, s16
	s_add_u32 s12, s12, s14
	s_mul_i32 s10, s5, s47
	s_addc_u32 s11, s11, s13
	s_mul_hi_u32 s9, s5, s47
	s_add_u32 s10, s12, s10
	s_mul_i32 s7, s57, s4
	s_addc_u32 s9, s11, s9
	;; [unrolled: 4-line block ×3, first 2 shown]
	s_mul_hi_u32 s0, s70, s1
	s_add_u32 s6, s7, s2
	s_addc_u32 s7, s9, s0
	s_and_b32 s0, s6, 0x3ffffff
	s_lshr_b64 s[6:7], s[6:7], 26
	s_mul_i32 s18, s46, s16
	s_mul_i32 s20, s82, s82
	s_mul_hi_u32 s17, s46, s16
	s_mul_hi_u32 s19, s82, s82
	s_add_u32 s18, s18, s20
	s_mul_i32 s15, s47, s8
	s_addc_u32 s17, s17, s19
	s_mul_hi_u32 s14, s47, s8
	s_add_u32 s15, s18, s15
	s_mul_i32 s13, s5, s57
	s_addc_u32 s14, s17, s14
	;; [unrolled: 4-line block ×3, first 2 shown]
	s_mul_hi_u32 s2, s70, s4
	s_add_u32 s11, s13, s11
	s_addc_u32 s2, s12, s2
	s_add_u32 s6, s11, s6
	s_addc_u32 s7, s2, s7
	s_and_b32 s2, s6, 0x3ffffff
	s_mul_i32 s10, s49, s49
	s_lshr_b64 s[6:7], s[6:7], 26
	s_mul_i32 s12, s2, 0x3d10
	s_mul_hi_u32 s9, s49, s49
	s_mul_hi_u32 s11, s2, 0x3d10
	s_add_u32 s10, s12, s10
	s_mov_b32 s3, 0
	s_addc_u32 s11, s11, s9
	s_lshl_b32 s22, s82, 1
	s_and_b32 s9, s10, 0x3fffffd
	s_lshr_b64 s[10:11], s[10:11], 26
	s_lshl_b64 s[12:13], s[2:3], 10
	s_mul_i32 s21, s47, s16
	s_mul_i32 s24, s46, s22
	s_mul_hi_u32 s20, s47, s16
	s_mul_hi_u32 s23, s46, s22
	s_add_u32 s21, s21, s24
	s_mul_i32 s19, s57, s8
	s_addc_u32 s20, s20, s23
	s_mul_hi_u32 s18, s57, s8
	s_add_u32 s19, s21, s19
	s_mul_i32 s17, s5, s70
	s_addc_u32 s18, s20, s18
	s_mul_hi_u32 s2, s5, s70
	s_add_u32 s17, s19, s17
	s_addc_u32 s2, s18, s2
	s_add_u32 s6, s17, s6
	s_addc_u32 s7, s2, s7
	s_mul_i32 s15, s48, s1
	s_and_b32 s2, s6, 0x3ffffff
	s_lshr_b64 s[6:7], s[6:7], 26
	s_mul_hi_u32 s14, s48, s1
	s_add_u32 s12, s12, s15
	s_addc_u32 s13, s13, s14
	s_add_u32 s10, s12, s10
	s_mul_i32 s18, s2, 0x3d10
	s_addc_u32 s11, s13, s11
	s_mul_hi_u32 s17, s2, 0x3d10
	s_add_u32 s12, s10, s18
	s_addc_u32 s13, s11, s17
	s_lshl_b64 s[14:15], s[2:3], 10
	s_mul_i32 s2, s95, s1
	s_mul_hi_u32 s11, s94, s1
	s_and_b32 s10, s12, 0x3ffffff
	s_lshr_b64 s[12:13], s[12:13], 26
	s_add_i32 s11, s11, s2
	s_mul_i32 s25, s47, s22
	s_mul_i32 s27, s46, s46
	s_mul_hi_u32 s24, s47, s22
	s_mul_hi_u32 s26, s46, s46
	s_add_u32 s25, s25, s27
	s_mul_i32 s23, s57, s16
	s_addc_u32 s24, s24, s26
	s_mul_hi_u32 s21, s57, s16
	s_add_u32 s23, s25, s23
	s_mul_i32 s20, s70, s8
	s_addc_u32 s21, s24, s21
	s_mul_hi_u32 s2, s70, s8
	s_add_u32 s20, s23, s20
	s_addc_u32 s2, s21, s2
	s_add_u32 s6, s20, s6
	s_addc_u32 s7, s2, s7
	s_mul_i32 s17, s94, s1
	s_mul_i32 s19, s48, s48
	s_and_b32 s2, s6, 0x3ffffff
	s_lshr_b64 s[6:7], s[6:7], 26
	s_mul_hi_u32 s18, s48, s48
	s_add_u32 s17, s17, s19
	s_addc_u32 s11, s11, s18
	s_add_u32 s14, s17, s14
	s_mul_i32 s21, s2, 0x3d10
	s_addc_u32 s11, s11, s15
	s_mul_hi_u32 s20, s2, 0x3d10
	s_add_u32 s14, s14, s21
	s_addc_u32 s11, s11, s20
	s_add_u32 s12, s14, s12
	s_addc_u32 s13, s11, s13
	s_lshl_b64 s[14:15], s[2:3], 10
	s_mul_i32 s2, s95, s4
	s_mul_hi_u32 s17, s94, s4
	s_lshl_b32 s24, s46, 1
	s_and_b32 s11, s12, 0x3ffffff
	s_lshr_b64 s[12:13], s[12:13], 26
	s_add_i32 s20, s17, s2
	s_mul_i32 s23, s57, s22
	s_mul_i32 s26, s47, s24
	s_mul_hi_u32 s17, s57, s22
	s_mul_hi_u32 s25, s47, s24
	s_add_u32 s23, s23, s26
	s_mul_hi_u32 s2, s70, s16
	s_mul_i32 s16, s70, s16
	s_addc_u32 s17, s17, s25
	s_add_u32 s16, s23, s16
	s_addc_u32 s2, s17, s2
	s_add_u32 s6, s16, s6
	s_addc_u32 s7, s2, s7
	s_mul_i32 s19, s83, s1
	s_mul_i32 s21, s94, s4
	s_and_b32 s2, s6, 0x3ffffff
	s_lshr_b64 s[16:17], s[6:7], 26
	s_mul_hi_u32 s18, s83, s1
	s_add_u32 s19, s19, s21
	s_addc_u32 s18, s18, s20
	s_add_u32 s14, s19, s14
	s_mul_i32 s7, s2, 0x3d10
	s_addc_u32 s15, s18, s15
	s_mul_hi_u32 s6, s2, 0x3d10
	s_add_u32 s7, s14, s7
	s_addc_u32 s6, s15, s6
	s_add_u32 s12, s7, s12
	s_addc_u32 s13, s6, s13
	s_lshl_b64 s[14:15], s[2:3], 10
	s_mul_i32 s2, s94, s95
	s_mul_hi_u32 s21, s94, s94
	s_add_i32 s21, s21, s2
	s_and_b32 s6, s12, 0x3ffffff
	s_lshr_b64 s[12:13], s[12:13], 26
	s_add_i32 s21, s21, s2
	s_mul_i32 s26, s57, s24
	s_mul_i32 s28, s47, s47
	s_mul_hi_u32 s25, s57, s24
	s_mul_hi_u32 s27, s47, s47
	s_add_u32 s26, s26, s28
	s_mul_hi_u32 s2, s70, s22
	s_mul_i32 s22, s70, s22
	s_addc_u32 s25, s25, s27
	s_add_u32 s22, s26, s22
	s_addc_u32 s2, s25, s2
	s_add_u32 s16, s22, s16
	s_addc_u32 s17, s2, s17
	s_mul_i32 s20, s83, s4
	s_mul_i32 s23, s94, s94
	s_and_b32 s2, s16, 0x3ffffff
	s_lshr_b64 s[16:17], s[16:17], 26
	s_mul_hi_u32 s19, s83, s4
	s_add_u32 s20, s20, s23
	s_mul_i32 s18, s84, s1
	s_addc_u32 s19, s19, s21
	s_mul_hi_u32 s7, s84, s1
	s_add_u32 s18, s20, s18
	s_addc_u32 s7, s19, s7
	s_add_u32 s14, s18, s14
	s_mul_i32 s25, s2, 0x3d10
	s_addc_u32 s7, s7, s15
	s_mul_hi_u32 s22, s2, 0x3d10
	s_add_u32 s14, s14, s25
	s_addc_u32 s7, s7, s22
	s_add_u32 s12, s14, s12
	s_addc_u32 s13, s7, s13
	s_lshl_b32 s25, s47, 1
	s_and_b32 s7, s12, 0x3ffffff
	s_lshr_b64 s[12:13], s[12:13], 26
	s_lshl_b64 s[14:15], s[2:3], 10
	s_mul_hi_u32 s2, s70, s24
	s_mul_i32 s24, s70, s24
	s_mul_i32 s27, s57, s25
	s_mul_hi_u32 s26, s57, s25
	s_add_u32 s24, s24, s27
	s_addc_u32 s2, s2, s26
	s_add_u32 s16, s24, s16
	s_addc_u32 s17, s2, s17
	s_mul_i32 s21, s84, s4
	s_mul_i32 s23, s5, s83
	s_and_b32 s2, s16, 0x3ffffff
	s_lshr_b64 s[16:17], s[16:17], 26
	s_mul_hi_u32 s20, s84, s4
	s_mul_hi_u32 s22, s5, s83
	s_add_u32 s21, s21, s23
	s_mul_i32 s19, s82, s1
	s_addc_u32 s20, s20, s22
	s_mul_hi_u32 s18, s82, s1
	s_add_u32 s19, s21, s19
	s_addc_u32 s18, s20, s18
	s_add_u32 s14, s19, s14
	s_mul_i32 s26, s2, 0x3d10
	s_addc_u32 s15, s18, s15
	s_mul_hi_u32 s24, s2, 0x3d10
	s_add_u32 s14, s14, s26
	s_addc_u32 s15, s15, s24
	s_add_u32 s12, s14, s12
	s_addc_u32 s13, s15, s13
	s_and_b32 s14, s12, 0x3ffffff
	s_lshr_b64 s[12:13], s[12:13], 26
	s_lshl_b64 s[18:19], s[2:3], 10
	s_mul_hi_u32 s2, s70, s25
	s_mul_i32 s25, s70, s25
	s_mul_i32 s29, s57, s57
	s_mul_hi_u32 s28, s57, s57
	s_add_u32 s25, s25, s29
	s_addc_u32 s2, s2, s28
	s_add_u32 s16, s25, s16
	s_addc_u32 s17, s2, s17
	s_mul_i32 s24, s5, s84
	s_mul_i32 s27, s83, s83
	s_and_b32 s2, s16, 0x3ffffff
	s_lshr_b64 s[16:17], s[16:17], 26
	s_mul_hi_u32 s23, s5, s84
	s_mul_hi_u32 s26, s83, s83
	s_add_u32 s24, s24, s27
	s_mul_i32 s22, s82, s4
	s_addc_u32 s23, s23, s26
	s_mul_hi_u32 s21, s82, s4
	s_add_u32 s22, s24, s22
	s_mul_i32 s20, s46, s1
	s_addc_u32 s21, s23, s21
	s_mul_hi_u32 s15, s46, s1
	s_add_u32 s20, s22, s20
	s_addc_u32 s15, s21, s15
	s_add_u32 s18, s20, s18
	s_mul_i32 s28, s2, 0x3d10
	s_addc_u32 s15, s15, s19
	s_mul_hi_u32 s25, s2, 0x3d10
	s_add_u32 s18, s18, s28
	s_addc_u32 s15, s15, s25
	s_add_u32 s12, s18, s12
	s_addc_u32 s13, s15, s13
	s_lshl_b64 s[18:19], s[2:3], 10
	s_lshl_b32 s2, s57, 1
	s_and_b32 s15, s12, 0x3ffffff
	s_lshr_b64 s[12:13], s[12:13], 26
	s_mul_hi_u32 s24, s70, s2
	s_mul_i32 s2, s70, s2
	s_add_u32 s16, s16, s2
	s_addc_u32 s17, s17, s24
	s_mul_i32 s27, s5, s82
	s_mul_i32 s29, s84, s8
	s_and_b32 s2, s16, 0x3ffffff
	s_lshr_b64 s[24:25], s[16:17], 26
	s_mul_hi_u32 s26, s5, s82
	s_mul_hi_u32 s28, s84, s8
	s_add_u32 s27, s27, s29
	s_mul_i32 s23, s46, s4
	s_addc_u32 s26, s26, s28
	s_mul_hi_u32 s22, s46, s4
	s_add_u32 s23, s27, s23
	s_mul_i32 s21, s47, s1
	s_addc_u32 s22, s26, s22
	s_mul_hi_u32 s20, s47, s1
	s_add_u32 s21, s23, s21
	s_addc_u32 s20, s22, s20
	s_add_u32 s18, s21, s18
	s_mul_i32 s17, s2, 0x3d10
	s_addc_u32 s19, s20, s19
	s_mul_hi_u32 s16, s2, 0x3d10
	s_add_u32 s17, s18, s17
	s_addc_u32 s16, s19, s16
	s_add_u32 s12, s17, s12
	s_addc_u32 s13, s16, s13
	s_and_b32 s16, s12, 0x3ffffff
	s_lshr_b64 s[12:13], s[12:13], 26
	s_lshl_b64 s[18:19], s[2:3], 10
	s_mul_hi_u32 s20, s47, s4
	s_mul_i32 s21, s47, s4
	s_mul_i32 s4, s70, s70
	s_mul_hi_u32 s2, s70, s70
	s_add_u32 s4, s24, s4
	s_mul_hi_u32 s22, s5, s46
	s_mul_i32 s23, s5, s46
	s_addc_u32 s5, s25, s2
	s_mul_hi_u32 s26, s82, s8
	s_mul_i32 s8, s82, s8
	s_mul_i32 s28, s84, s84
	s_and_b32 s2, s4, 0x3ffffff
	s_lshr_b64 s[4:5], s[4:5], 26
	s_mul_hi_u32 s27, s84, s84
	s_add_u32 s8, s8, s28
	s_addc_u32 s26, s26, s27
	s_add_u32 s8, s8, s23
	s_addc_u32 s22, s26, s22
	s_add_u32 s8, s8, s21
	s_mul_hi_u32 s17, s57, s1
	s_mul_i32 s1, s57, s1
	s_addc_u32 s20, s22, s20
	s_add_u32 s1, s8, s1
	s_addc_u32 s8, s20, s17
	s_add_u32 s1, s1, s18
	s_mul_i32 s25, s2, 0x3d10
	s_addc_u32 s8, s8, s19
	s_mul_hi_u32 s24, s2, 0x3d10
	s_add_u32 s1, s1, s25
	s_addc_u32 s8, s8, s24
	s_add_u32 s12, s1, s12
	s_addc_u32 s13, s8, s13
	s_and_b32 s17, s12, 0x3ffffff
	s_lshr_b64 s[12:13], s[12:13], 26
	s_lshl_b64 s[18:19], s[2:3], 10
	s_mul_i32 s2, s4, 0x3d10
	s_mul_hi_u32 s1, s4, 0x3d10
	s_add_u32 s0, s2, s0
	s_addc_u32 s1, s1, 0
	s_add_u32 s0, s0, s18
	s_addc_u32 s1, s1, s19
	;; [unrolled: 2-line block ×3, first 2 shown]
	s_and_b32 s18, s0, 0x3fffff
	s_lshr_b64 s[0:1], s[0:1], 22
	s_lshl_b64 s[4:5], s[4:5], 14
	s_add_u32 s0, s0, s4
	s_addc_u32 s1, s1, s5
	s_mul_i32 s2, s1, 0x3d1
	s_mul_hi_u32 s4, s0, 0x3d1
	s_add_i32 s2, s4, s2
	s_mul_i32 s4, s0, 0x3d1
	s_add_u32 s4, s4, s9
	s_addc_u32 s5, s2, 0
	s_and_b32 s21, s4, 0x3ffffff
	s_lshr_b64 s[4:5], s[4:5], 26
	s_lshl_b64 s[0:1], s[0:1], 6
	s_add_u32 s0, s0, s10
	s_addc_u32 s1, s1, 0
	s_add_u32 s0, s0, s4
	s_addc_u32 s1, s1, s5
	s_and_b32 s25, s0, 0x3ffffff
	s_lshr_b64 s[0:1], s[0:1], 26
	s_add_u32 s24, s0, s11
	s_addc_u32 s26, s1, 0
	s_mul_i32 s5, s26, s47
	s_mul_hi_u32 s8, s24, s47
	s_mul_i32 s23, s16, s95
	s_mul_hi_u32 s27, s16, s94
	s_add_i32 s8, s8, s5
	s_mul_i32 s10, s6, s46
	s_mul_i32 s12, s7, s82
	s_add_i32 s27, s27, s23
	s_mul_hi_u32 s9, s6, s46
	s_mul_hi_u32 s11, s7, s82
	s_add_u32 s10, s12, s10
	s_mul_i32 s19, s14, s84
	s_addc_u32 s9, s11, s9
	s_mul_hi_u32 s13, s14, s84
	s_add_u32 s10, s10, s19
	s_mul_i32 s22, s15, s83
	s_addc_u32 s9, s9, s13
	;; [unrolled: 4-line block ×3, first 2 shown]
	s_add_u32 s10, s10, s23
	s_mul_i32 s29, s17, s48
	s_addc_u32 s9, s9, s27
	s_mul_hi_u32 s28, s17, s48
	s_add_u32 s10, s10, s29
	s_mul_i32 s31, s18, s49
	s_addc_u32 s9, s9, s28
	s_mul_hi_u32 s30, s18, s49
	;; [unrolled: 4-line block ×4, first 2 shown]
	s_add_u32 s1, s1, s4
	s_mul_i32 s5, s24, s47
	s_addc_u32 s2, s0, s2
	s_add_u32 s0, s1, s5
	s_addc_u32 s1, s2, s8
	s_mul_i32 s9, s26, s57
	s_mul_hi_u32 s10, s24, s57
	s_mul_i32 s31, s17, s95
	s_mul_hi_u32 s34, s17, s94
	s_and_b32 s19, s0, 0x3ffffff
	s_lshr_b64 s[0:1], s[0:1], 26
	s_add_i32 s10, s10, s9
	s_mul_i32 s12, s6, s47
	s_mul_i32 s20, s7, s46
	s_add_i32 s34, s34, s31
	s_mul_hi_u32 s11, s6, s47
	s_mul_hi_u32 s13, s7, s46
	s_add_u32 s12, s20, s12
	s_mul_i32 s23, s14, s82
	s_addc_u32 s11, s13, s11
	s_mul_hi_u32 s22, s14, s82
	s_add_u32 s12, s12, s23
	s_mul_i32 s28, s15, s84
	s_addc_u32 s11, s11, s22
	;; [unrolled: 4-line block ×4, first 2 shown]
	s_add_u32 s12, s12, s31
	s_mul_i32 s36, s18, s48
	s_addc_u32 s11, s11, s34
	s_mul_hi_u32 s35, s18, s48
	s_add_u32 s12, s12, s36
	s_mul_i32 s8, s25, s70
	s_addc_u32 s11, s11, s35
	s_mul_hi_u32 s2, s25, s70
	s_add_u32 s8, s12, s8
	s_mul_i32 s9, s24, s57
	s_addc_u32 s2, s11, s2
	s_add_u32 s8, s8, s9
	s_addc_u32 s2, s2, s10
	s_add_u32 s0, s8, s0
	s_addc_u32 s1, s2, s1
	s_and_b32 s2, s0, 0x3ffffff
	s_mul_i32 s4, s21, s49
	s_lshr_b64 s[0:1], s[0:1], 26
	s_mul_i32 s9, s2, 0x3d10
	s_mul_hi_u32 s5, s21, s49
	s_mul_hi_u32 s8, s2, 0x3d10
	s_add_u32 s4, s9, s4
	s_addc_u32 s5, s8, s5
	s_lshl_b64 s[8:9], s[2:3], 10
	s_mul_i32 s2, s26, s70
	s_mul_hi_u32 s20, s24, s70
	s_mul_i32 s40, s18, s95
	s_mul_hi_u32 s41, s18, s94
	s_and_b32 s27, s4, 0x3ffffff
	s_lshr_b64 s[4:5], s[4:5], 26
	s_add_i32 s20, s20, s2
	s_mul_i32 s23, s6, s57
	s_mul_i32 s29, s7, s47
	s_add_i32 s41, s41, s40
	s_mul_hi_u32 s22, s6, s57
	s_mul_hi_u32 s28, s7, s47
	s_add_u32 s23, s29, s23
	s_mul_i32 s31, s14, s46
	s_addc_u32 s22, s28, s22
	s_mul_hi_u32 s30, s14, s46
	s_add_u32 s23, s23, s31
	s_mul_i32 s35, s15, s82
	s_addc_u32 s22, s22, s30
	;; [unrolled: 4-line block ×5, first 2 shown]
	s_add_u32 s23, s23, s40
	s_mul_i32 s2, s24, s70
	s_addc_u32 s22, s22, s41
	s_add_u32 s2, s23, s2
	s_addc_u32 s20, s22, s20
	s_add_u32 s0, s2, s0
	s_addc_u32 s1, s20, s1
	s_mul_i32 s11, s21, s48
	s_mul_i32 s13, s25, s49
	s_and_b32 s2, s0, 0x3ffffff
	s_lshr_b64 s[0:1], s[0:1], 26
	s_mul_hi_u32 s10, s21, s48
	s_mul_hi_u32 s12, s25, s49
	s_add_u32 s11, s13, s11
	s_addc_u32 s10, s12, s10
	s_add_u32 s8, s11, s8
	s_addc_u32 s9, s10, s9
	s_add_u32 s4, s8, s4
	s_mul_i32 s22, s2, 0x3d10
	s_addc_u32 s5, s9, s5
	s_mul_hi_u32 s20, s2, 0x3d10
	s_add_u32 s4, s4, s22
	s_addc_u32 s5, s5, s20
	s_lshl_b64 s[8:9], s[2:3], 10
	s_mul_i32 s2, s21, s95
	s_mul_hi_u32 s10, s21, s94
	s_add_i32 s10, s10, s2
	s_mul_i32 s2, s26, s49
	s_mul_hi_u32 s20, s24, s49
	s_and_b32 s28, s4, 0x3ffffff
	s_lshr_b64 s[4:5], s[4:5], 26
	s_add_i32 s20, s20, s2
	s_mul_i32 s23, s6, s70
	s_mul_i32 s30, s7, s57
	s_mul_hi_u32 s2, s6, s70
	s_mul_hi_u32 s29, s7, s57
	s_add_u32 s23, s30, s23
	s_addc_u32 s2, s29, s2
	s_mul_i32 s30, s14, s47
	s_mul_hi_u32 s29, s14, s47
	s_add_u32 s23, s23, s30
	s_addc_u32 s2, s2, s29
	s_mul_i32 s30, s15, s46
	;; [unrolled: 4-line block ×5, first 2 shown]
	s_mul_hi_u32 s29, s18, s83
	s_add_u32 s23, s23, s30
	s_addc_u32 s2, s2, s29
	s_add_u32 s0, s23, s0
	s_addc_u32 s1, s2, s1
	s_mul_i32 s11, s21, s94
	s_mul_i32 s13, s25, s48
	s_and_b32 s2, s0, 0x3ffffff
	s_lshr_b64 s[0:1], s[0:1], 26
	s_mul_hi_u32 s12, s25, s48
	s_add_u32 s11, s13, s11
	s_mul_i32 s22, s24, s49
	s_addc_u32 s10, s12, s10
	s_add_u32 s11, s11, s22
	s_addc_u32 s10, s10, s20
	s_add_u32 s8, s11, s8
	s_mul_i32 s29, s2, 0x3d10
	s_addc_u32 s9, s10, s9
	s_mul_hi_u32 s23, s2, 0x3d10
	s_add_u32 s8, s8, s29
	s_addc_u32 s9, s9, s23
	s_add_u32 s4, s8, s4
	s_addc_u32 s5, s9, s5
	s_lshl_b64 s[8:9], s[2:3], 10
	s_mul_i32 s2, s25, s95
	s_mul_hi_u32 s10, s25, s94
	s_add_i32 s20, s10, s2
	s_mul_i32 s2, s26, s48
	s_mul_hi_u32 s10, s24, s48
	s_and_b32 s29, s4, 0x3ffffff
	s_lshr_b64 s[4:5], s[4:5], 26
	s_add_i32 s23, s10, s2
	s_mul_i32 s10, s7, s70
	s_mul_i32 s35, s14, s57
	s_mul_hi_u32 s2, s7, s70
	s_mul_hi_u32 s11, s14, s57
	s_add_u32 s10, s35, s10
	s_addc_u32 s2, s11, s2
	s_mul_i32 s35, s15, s47
	s_mul_hi_u32 s11, s15, s47
	s_add_u32 s10, s10, s35
	s_addc_u32 s2, s2, s11
	s_mul_i32 s35, s16, s46
	;; [unrolled: 4-line block ×4, first 2 shown]
	s_mul_hi_u32 s11, s18, s84
	s_add_u32 s10, s10, s35
	s_addc_u32 s2, s2, s11
	s_add_u32 s0, s10, s0
	s_addc_u32 s1, s2, s1
	s_mul_i32 s13, s21, s83
	s_mul_i32 s34, s6, s49
	s_and_b32 s2, s0, 0x3ffffff
	s_lshr_b64 s[10:11], s[0:1], 26
	s_mul_hi_u32 s12, s21, s83
	s_mul_hi_u32 s31, s6, s49
	s_add_u32 s13, s13, s34
	s_mul_i32 s22, s25, s94
	s_addc_u32 s12, s12, s31
	s_add_u32 s13, s13, s22
	s_mul_i32 s30, s24, s48
	s_addc_u32 s12, s12, s20
	s_add_u32 s13, s13, s30
	s_addc_u32 s12, s12, s23
	s_add_u32 s8, s13, s8
	s_mul_i32 s1, s2, 0x3d10
	s_addc_u32 s9, s12, s9
	s_mul_hi_u32 s0, s2, 0x3d10
	s_add_u32 s1, s8, s1
	s_addc_u32 s8, s9, s0
	s_add_u32 s0, s1, s4
	s_addc_u32 s1, s8, s5
	s_lshl_b64 s[8:9], s[2:3], 10
	s_mul_i32 s2, s24, s95
	s_mul_hi_u32 s22, s24, s94
	s_add_i32 s2, s22, s2
	s_mul_i32 s22, s26, s94
	s_lshr_b64 s[4:5], s[0:1], 26
	s_add_i32 s22, s2, s22
	s_mul_i32 s36, s14, s70
	s_mul_i32 s38, s15, s57
	s_mul_hi_u32 s2, s14, s70
	s_mul_hi_u32 s37, s15, s57
	s_add_u32 s36, s38, s36
	s_addc_u32 s2, s37, s2
	s_mul_i32 s38, s16, s47
	s_mul_hi_u32 s37, s16, s47
	s_add_u32 s36, s36, s38
	s_addc_u32 s2, s2, s37
	s_mul_i32 s38, s17, s46
	;; [unrolled: 4-line block ×3, first 2 shown]
	s_mul_hi_u32 s37, s18, s82
	s_add_u32 s36, s36, s38
	s_addc_u32 s2, s2, s37
	s_add_u32 s10, s36, s10
	s_addc_u32 s11, s2, s11
	s_mul_i32 s31, s6, s48
	s_mul_i32 s35, s7, s49
	s_and_b32 s2, s10, 0x3ffffff
	s_lshr_b64 s[10:11], s[10:11], 26
	s_mul_hi_u32 s30, s6, s48
	s_mul_hi_u32 s34, s7, s49
	s_add_u32 s31, s35, s31
	s_mul_i32 s12, s21, s84
	s_addc_u32 s30, s34, s30
	s_mul_hi_u32 s1, s21, s84
	s_add_u32 s12, s31, s12
	s_mul_i32 s20, s25, s83
	s_addc_u32 s1, s30, s1
	;; [unrolled: 4-line block ×3, first 2 shown]
	s_add_u32 s12, s12, s23
	s_addc_u32 s1, s1, s22
	s_add_u32 s8, s12, s8
	s_mul_i32 s37, s2, 0x3d10
	s_addc_u32 s1, s1, s9
	s_mul_hi_u32 s36, s2, 0x3d10
	s_add_u32 s8, s8, s37
	s_addc_u32 s1, s1, s36
	s_add_u32 s4, s8, s4
	s_addc_u32 s5, s1, s5
	s_lshl_b64 s[12:13], s[2:3], 10
	s_mul_i32 s2, s26, s83
	s_mul_hi_u32 s23, s24, s83
	s_add_i32 s23, s23, s2
	s_mul_i32 s2, s6, s95
	s_mul_hi_u32 s31, s6, s94
	s_lshr_b64 s[8:9], s[4:5], 26
	s_add_i32 s31, s31, s2
	s_mul_i32 s39, s15, s70
	s_mul_i32 s41, s16, s57
	s_mul_hi_u32 s2, s15, s70
	s_mul_hi_u32 s40, s16, s57
	s_add_u32 s39, s41, s39
	s_addc_u32 s2, s40, s2
	s_mul_i32 s41, s17, s47
	s_mul_hi_u32 s40, s17, s47
	s_add_u32 s39, s39, s41
	s_addc_u32 s2, s2, s40
	s_mul_i32 s41, s18, s46
	s_mul_hi_u32 s40, s18, s46
	s_add_u32 s39, s39, s41
	s_addc_u32 s2, s2, s40
	s_add_u32 s10, s39, s10
	s_addc_u32 s11, s2, s11
	s_mul_i32 s34, s6, s94
	s_mul_i32 s36, s7, s48
	s_and_b32 s2, s10, 0x3ffffff
	s_lshr_b64 s[10:11], s[10:11], 26
	s_mul_hi_u32 s35, s7, s48
	s_add_u32 s34, s36, s34
	s_mul_i32 s38, s14, s49
	s_addc_u32 s31, s35, s31
	s_mul_hi_u32 s37, s14, s49
	s_add_u32 s34, s34, s38
	s_mul_i32 s5, s21, s82
	s_addc_u32 s31, s31, s37
	;; [unrolled: 4-line block ×4, first 2 shown]
	s_add_u32 s5, s5, s30
	s_addc_u32 s1, s1, s23
	s_add_u32 s5, s5, s12
	s_mul_i32 s40, s2, 0x3d10
	s_addc_u32 s1, s1, s13
	s_mul_hi_u32 s39, s2, 0x3d10
	s_add_u32 s5, s5, s40
	s_addc_u32 s1, s1, s39
	s_add_u32 s12, s5, s8
	s_addc_u32 s13, s1, s9
	s_lshl_b64 s[30:31], s[2:3], 10
	s_mul_i32 s2, s26, s84
	s_mul_hi_u32 s22, s24, s84
	s_add_i32 s22, s22, s2
	s_mul_i32 s2, s7, s95
	s_mul_hi_u32 s34, s7, s94
	s_lshr_b64 s[8:9], s[12:13], 26
	s_add_i32 s38, s34, s2
	s_mul_i32 s34, s16, s70
	s_mul_i32 s44, s17, s57
	s_mul_hi_u32 s2, s16, s70
	s_mul_hi_u32 s35, s17, s57
	s_add_u32 s34, s44, s34
	s_addc_u32 s2, s35, s2
	s_mul_i32 s44, s18, s47
	s_mul_hi_u32 s35, s18, s47
	s_add_u32 s34, s34, s44
	s_addc_u32 s2, s2, s35
	s_add_u32 s10, s34, s10
	s_addc_u32 s11, s2, s11
	s_mul_i32 s37, s6, s83
	s_mul_i32 s39, s7, s94
	s_and_b32 s2, s10, 0x3ffffff
	s_lshr_b64 s[34:35], s[10:11], 26
	s_mul_hi_u32 s36, s6, s83
	s_add_u32 s37, s39, s37
	s_mul_i32 s41, s14, s48
	s_addc_u32 s36, s38, s36
	s_mul_hi_u32 s40, s14, s48
	s_add_u32 s37, s37, s41
	s_mul_i32 s43, s15, s49
	s_addc_u32 s36, s36, s40
	s_mul_hi_u32 s42, s15, s49
	s_add_u32 s37, s37, s43
	s_mul_i32 s5, s21, s46
	s_addc_u32 s36, s36, s42
	s_mul_hi_u32 s1, s21, s46
	s_add_u32 s5, s37, s5
	s_mul_i32 s20, s25, s82
	s_addc_u32 s1, s36, s1
	s_mul_hi_u32 s13, s25, s82
	s_add_u32 s5, s5, s20
	s_mul_i32 s23, s24, s84
	s_addc_u32 s1, s1, s13
	s_add_u32 s5, s5, s23
	s_addc_u32 s1, s1, s22
	s_add_u32 s5, s5, s30
	s_mul_i32 s11, s2, 0x3d10
	s_addc_u32 s1, s1, s31
	s_mul_hi_u32 s10, s2, 0x3d10
	s_add_u32 s5, s5, s11
	s_addc_u32 s1, s1, s10
	s_add_u32 s10, s5, s8
	s_addc_u32 s11, s1, s9
	s_lshl_b64 s[30:31], s[2:3], 10
	s_mul_i32 s2, s26, s82
	s_mul_hi_u32 s20, s24, s82
	s_add_i32 s20, s20, s2
	s_mul_i32 s2, s14, s95
	s_mul_hi_u32 s39, s14, s94
	s_lshr_b64 s[8:9], s[10:11], 26
	s_add_i32 s39, s39, s2
	s_mul_i32 s43, s17, s70
	s_mul_i32 s44, s18, s57
	s_mul_hi_u32 s2, s17, s70
	s_add_u32 s43, s44, s43
	s_mul_hi_u32 s44, s18, s57
	s_addc_u32 s2, s44, s2
	s_add_u32 s34, s43, s34
	s_addc_u32 s35, s2, s35
	s_mul_i32 s36, s6, s84
	s_mul_i32 s38, s7, s83
	s_and_b32 s2, s34, 0x3ffffff
	s_lshr_b64 s[34:35], s[34:35], 26
	s_mul_hi_u32 s23, s6, s84
	s_mul_hi_u32 s37, s7, s83
	s_add_u32 s36, s38, s36
	s_mul_i32 s40, s14, s94
	s_addc_u32 s23, s37, s23
	s_add_u32 s36, s36, s40
	s_mul_i32 s42, s15, s48
	s_addc_u32 s23, s23, s39
	s_mul_hi_u32 s41, s15, s48
	s_add_u32 s36, s36, s42
	s_mul_i32 s44, s16, s49
	s_addc_u32 s23, s23, s41
	s_mul_hi_u32 s43, s16, s49
	;; [unrolled: 4-line block ×4, first 2 shown]
	s_add_u32 s5, s5, s13
	s_mul_i32 s22, s24, s82
	s_addc_u32 s1, s1, s11
	s_add_u32 s5, s5, s22
	s_addc_u32 s1, s1, s20
	s_add_u32 s5, s5, s30
	s_mul_i32 s38, s2, 0x3d10
	s_addc_u32 s1, s1, s31
	s_mul_hi_u32 s45, s2, 0x3d10
	s_add_u32 s5, s5, s38
	s_addc_u32 s1, s1, s45
	s_add_u32 s8, s5, s8
	s_addc_u32 s9, s1, s9
	s_lshl_b64 s[36:37], s[2:3], 10
	s_mul_i32 s26, s26, s46
	s_mul_hi_u32 s2, s24, s46
	s_lshr_b64 s[30:31], s[8:9], 26
	s_add_i32 s9, s2, s26
	s_mul_hi_u32 s11, s6, s82
	s_mul_i32 s13, s6, s82
	s_mul_i32 s2, s15, s95
	s_mul_hi_u32 s6, s15, s94
	s_add_i32 s38, s6, s2
	s_mul_hi_u32 s2, s18, s70
	s_mul_i32 s18, s18, s70
	s_add_u32 s6, s34, s18
	s_mul_hi_u32 s20, s7, s84
	s_mul_i32 s22, s7, s84
	s_addc_u32 s7, s35, s2
	s_mul_hi_u32 s23, s14, s83
	s_mul_i32 s26, s14, s83
	s_mul_i32 s39, s15, s94
	s_and_b32 s2, s6, 0x3ffffff
	s_lshr_b64 s[14:15], s[6:7], 26
	s_add_u32 s13, s22, s13
	s_addc_u32 s11, s20, s11
	s_add_u32 s13, s13, s26
	s_addc_u32 s11, s11, s23
	s_add_u32 s13, s13, s39
	s_mul_hi_u32 s40, s16, s48
	s_mul_i32 s16, s16, s48
	s_addc_u32 s11, s11, s38
	s_add_u32 s13, s13, s16
	s_mul_hi_u32 s41, s17, s49
	s_mul_i32 s17, s17, s49
	;; [unrolled: 4-line block ×4, first 2 shown]
	s_addc_u32 s1, s11, s1
	s_add_u32 s11, s13, s25
	s_mul_i32 s24, s24, s46
	s_addc_u32 s1, s1, s5
	s_add_u32 s5, s11, s24
	s_addc_u32 s1, s1, s9
	s_add_u32 s5, s5, s36
	s_mul_i32 s7, s2, 0x3d10
	s_addc_u32 s1, s1, s37
	s_mul_hi_u32 s6, s2, 0x3d10
	s_add_u32 s5, s5, s7
	s_addc_u32 s1, s1, s6
	s_add_u32 s6, s5, s30
	s_addc_u32 s7, s1, s31
	s_lshr_b64 s[16:17], s[6:7], 26
	s_lshl_b64 s[24:25], s[2:3], 10
	s_mul_i32 s2, s14, 0x3d10
	s_mul_hi_u32 s1, s14, 0x3d10
	s_add_u32 s2, s2, s19
	s_addc_u32 s1, s1, 0
	s_add_u32 s2, s2, s24
	s_addc_u32 s1, s1, s25
	;; [unrolled: 2-line block ×3, first 2 shown]
	s_and_b32 s33, s16, 0x3fffff
	s_lshr_b64 s[16:17], s[16:17], 22
	s_lshl_b64 s[14:15], s[14:15], 14
	s_add_u32 s14, s16, s14
	s_addc_u32 s15, s17, s15
	s_mul_i32 s1, s15, 0x3d1
	s_mul_hi_u32 s2, s14, 0x3d1
	s_add_i32 s2, s2, s1
	s_mul_i32 s1, s14, 0x3d1
	s_add_u32 s16, s1, s27
	s_addc_u32 s17, s2, 0
	s_lshr_b64 s[18:19], s[16:17], 26
	s_lshl_b64 s[14:15], s[14:15], 6
	s_add_u32 s1, s14, s28
	s_addc_u32 s2, s15, 0
	s_add_u32 s14, s1, s18
	s_addc_u32 s15, s2, s19
	s_lshr_b64 s[18:19], s[14:15], 26
	s_add_u32 s35, s18, s29
	s_addc_u32 s36, s19, 0
	s_lshl_b32 s13, s0, 1
	s_lshl_b32 s21, s4, 1
	;; [unrolled: 1-line block ×4, first 2 shown]
	s_and_b32 s13, s13, 0x7fffffe
	s_and_b32 s39, s10, 0x3ffffff
	;; [unrolled: 1-line block ×7, first 2 shown]
	s_lshl_b32 s11, s35, 1
	s_and_b32 s38, s8, 0x3ffffff
	s_mul_i32 s20, s39, s13
	s_mul_i32 s23, s40, s21
	s_mul_hi_u32 s19, s39, s13
	s_mul_hi_u32 s22, s40, s21
	s_add_u32 s20, s20, s23
	s_mul_i32 s2, s7, s33
	s_addc_u32 s19, s19, s22
	s_mul_hi_u32 s1, s7, s33
	s_add_u32 s2, s20, s2
	s_mul_i32 s15, s9, s37
	s_addc_u32 s1, s19, s1
	;; [unrolled: 4-line block ×3, first 2 shown]
	s_mul_hi_u32 s17, s11, s38
	s_add_u32 s18, s2, s18
	s_addc_u32 s19, s1, s17
	s_and_b32 s5, s18, 0x3fffffe
	s_lshr_b64 s[18:19], s[18:19], 26
	s_and_b32 s2, s16, 0x3ffffff
	s_mul_i32 s25, s39, s21
	s_mul_i32 s27, s40, s40
	s_mul_hi_u32 s24, s39, s21
	s_mul_hi_u32 s26, s40, s40
	s_add_u32 s25, s25, s27
	s_mul_i32 s23, s38, s13
	s_addc_u32 s24, s24, s26
	s_mul_hi_u32 s22, s38, s13
	s_add_u32 s23, s25, s23
	s_mul_i32 s16, s9, s33
	s_addc_u32 s22, s24, s22
	s_mul_hi_u32 s1, s2, s2
	v_writelane_b32 v15, s2, 4
	s_mul_i32 s15, s2, s2
	s_mul_hi_u32 s2, s9, s33
	s_add_u32 s16, s23, s16
	s_mul_i32 s20, s11, s37
	s_addc_u32 s2, s22, s2
	s_mul_hi_u32 s17, s11, s37
	s_add_u32 s16, s16, s20
	s_addc_u32 s2, s2, s17
	s_add_u32 s16, s16, s18
	s_addc_u32 s17, s2, s19
	s_and_b32 s2, s16, 0x3ffffff
	s_lshr_b64 s[16:17], s[16:17], 26
	s_mul_i32 s18, s2, 0x3d10
	s_mul_hi_u32 s19, s2, 0x3d10
	s_add_u32 s18, s18, s15
	s_addc_u32 s19, s19, s1
	s_lshl_b32 s12, s12, 1
	s_and_b32 s28, s12, 0x7fffffe
	s_and_b32 s24, s18, 0x3ffffff
	s_lshr_b64 s[18:19], s[18:19], 26
	s_lshl_b64 s[26:27], s[2:3], 10
	s_and_b32 s30, s14, 0x3ffffff
	s_mul_i32 s25, s38, s21
	s_mul_i32 s29, s39, s28
	s_mul_hi_u32 s23, s38, s21
	s_mul_hi_u32 s12, s39, s28
	s_add_u32 s25, s25, s29
	s_mul_i32 s22, s37, s13
	s_addc_u32 s12, s23, s12
	s_mul_hi_u32 s15, s37, s13
	s_add_u32 s22, s25, s22
	s_mul_i32 s14, s11, s33
	s_addc_u32 s12, s12, s15
	s_mul_hi_u32 s2, s11, s33
	s_add_u32 s14, s22, s14
	s_addc_u32 s2, s12, s2
	s_add_u32 s14, s14, s16
	s_addc_u32 s15, s2, s17
	s_mul_i32 s20, s30, s7
	s_and_b32 s2, s14, 0x3ffffff
	s_lshr_b64 s[14:15], s[14:15], 26
	s_mul_hi_u32 s1, s30, s7
	s_add_u32 s17, s26, s20
	s_addc_u32 s1, s27, s1
	s_add_u32 s17, s17, s18
	s_mul_i32 s16, s2, 0x3d10
	s_addc_u32 s1, s1, s19
	s_mul_hi_u32 s12, s2, 0x3d10
	s_add_u32 s16, s17, s16
	s_addc_u32 s17, s1, s12
	s_lshl_b64 s[18:19], s[2:3], 10
	s_mul_i32 s1, s36, s7
	s_mul_hi_u32 s2, s35, s7
	s_and_b32 s12, s16, 0x3ffffff
	s_lshr_b64 s[16:17], s[16:17], 26
	s_add_i32 s1, s2, s1
	s_mul_hi_u32 s22, s30, s30
	v_writelane_b32 v15, s30, 5
	s_mul_i32 s23, s30, s30
	s_mul_i32 s30, s38, s28
	;; [unrolled: 1-line block ×3, first 2 shown]
	s_mul_hi_u32 s29, s38, s28
	s_mul_hi_u32 s31, s39, s39
	s_add_u32 s30, s30, s34
	s_mul_i32 s27, s37, s21
	s_addc_u32 s29, s29, s31
	s_mul_hi_u32 s26, s37, s21
	s_add_u32 s27, s30, s27
	s_mul_i32 s25, s33, s13
	s_addc_u32 s26, s29, s26
	s_mul_hi_u32 s2, s33, s13
	s_add_u32 s25, s27, s25
	s_addc_u32 s2, s26, s2
	s_add_u32 s14, s25, s14
	s_addc_u32 s15, s2, s15
	s_mul_i32 s20, s35, s7
	s_and_b32 s2, s14, 0x3ffffff
	s_lshr_b64 s[14:15], s[14:15], 26
	s_add_u32 s20, s20, s23
	s_addc_u32 s1, s1, s22
	s_add_u32 s18, s20, s18
	s_mul_i32 s26, s2, 0x3d10
	s_addc_u32 s1, s1, s19
	s_mul_hi_u32 s25, s2, 0x3d10
	s_add_u32 s18, s18, s26
	s_addc_u32 s1, s1, s25
	s_add_u32 s16, s18, s16
	s_addc_u32 s17, s1, s17
	s_lshl_b32 s10, s10, 1
	s_and_b32 s31, s0, 0x3ffffff
	s_mul_i32 s0, s36, s9
	s_mul_hi_u32 s1, s35, s9
	s_and_b32 s10, s10, 0x7fffffe
	s_and_b32 s25, s16, 0x3ffffff
	s_lshr_b64 s[16:17], s[16:17], 26
	s_lshl_b64 s[18:19], s[2:3], 10
	s_add_i32 s23, s1, s0
	s_mul_hi_u32 s0, s33, s21
	s_mul_i32 s1, s33, s21
	s_mul_i32 s21, s37, s28
	;; [unrolled: 1-line block ×3, first 2 shown]
	s_mul_hi_u32 s2, s37, s28
	s_mul_hi_u32 s27, s38, s10
	s_add_u32 s21, s21, s29
	s_addc_u32 s2, s2, s27
	s_add_u32 s1, s21, s1
	s_addc_u32 s2, s2, s0
	;; [unrolled: 2-line block ×3, first 2 shown]
	s_mul_i32 s22, s7, s31
	s_mul_i32 s26, s35, s9
	s_and_b32 s2, s0, 0x3ffffff
	s_lshr_b64 s[14:15], s[0:1], 26
	s_mul_hi_u32 s20, s7, s31
	s_add_u32 s21, s26, s22
	s_addc_u32 s20, s23, s20
	s_add_u32 s18, s21, s18
	s_mul_i32 s1, s2, 0x3d10
	s_addc_u32 s19, s20, s19
	s_mul_hi_u32 s0, s2, 0x3d10
	s_add_u32 s1, s18, s1
	s_addc_u32 s0, s19, s0
	s_add_u32 s16, s1, s16
	s_addc_u32 s17, s0, s17
	s_lshl_b64 s[18:19], s[2:3], 10
	s_mul_i32 s2, s35, s36
	s_mul_hi_u32 s22, s35, s35
	s_add_i32 s22, s22, s2
	s_and_b32 s0, s16, 0x3ffffff
	s_lshr_b64 s[16:17], s[16:17], 26
	s_and_b32 s34, s4, 0x3ffffff
	s_add_i32 s22, s22, s2
	s_mul_hi_u32 s2, s33, s28
	s_mul_i32 s26, s33, s28
	s_mul_i32 s28, s37, s10
	;; [unrolled: 1-line block ×3, first 2 shown]
	s_mul_hi_u32 s27, s37, s10
	s_mul_hi_u32 s29, s38, s38
	s_add_u32 s28, s28, s30
	s_addc_u32 s27, s27, s29
	s_add_u32 s26, s28, s26
	s_addc_u32 s2, s27, s2
	s_add_u32 s14, s26, s14
	s_addc_u32 s15, s2, s15
	s_mul_i32 s4, s7, s34
	s_mul_i32 s21, s9, s31
	s_and_b32 s2, s14, 0x3ffffff
	s_lshr_b64 s[14:15], s[14:15], 26
	s_mul_hi_u32 s1, s7, s34
	s_mul_hi_u32 s20, s9, s31
	s_add_u32 s4, s21, s4
	s_mul_i32 s23, s35, s35
	s_addc_u32 s1, s20, s1
	s_add_u32 s4, s4, s23
	s_addc_u32 s1, s1, s22
	s_add_u32 s4, s4, s18
	s_mul_i32 s27, s2, 0x3d10
	s_addc_u32 s1, s1, s19
	s_mul_hi_u32 s26, s2, 0x3d10
	s_add_u32 s4, s4, s27
	s_addc_u32 s1, s1, s26
	s_add_u32 s16, s4, s16
	s_addc_u32 s17, s1, s17
	s_lshl_b32 s8, s8, 1
	s_and_b32 s8, s8, 0x7fffffe
	s_and_b32 s1, s16, 0x3ffffff
	s_lshr_b64 s[16:17], s[16:17], 26
	s_lshl_b64 s[18:19], s[2:3], 10
	s_mul_hi_u32 s2, s33, s10
	s_mul_i32 s10, s33, s10
	s_mul_i32 s27, s37, s8
	s_mul_hi_u32 s26, s37, s8
	s_add_u32 s10, s10, s27
	s_addc_u32 s2, s2, s26
	s_add_u32 s14, s10, s14
	s_addc_u32 s15, s2, s15
	s_mul_i32 s20, s7, s40
	s_mul_i32 s22, s9, s34
	s_and_b32 s2, s14, 0x3ffffff
	s_lshr_b64 s[26:27], s[14:15], 26
	s_mul_hi_u32 s4, s7, s40
	s_mul_hi_u32 s21, s9, s34
	s_add_u32 s15, s22, s20
	s_mul_i32 s28, s11, s31
	s_addc_u32 s4, s21, s4
	s_mul_hi_u32 s23, s11, s31
	s_add_u32 s15, s15, s28
	s_addc_u32 s4, s4, s23
	s_add_u32 s15, s15, s18
	s_mul_i32 s14, s2, 0x3d10
	s_addc_u32 s4, s4, s19
	s_mul_hi_u32 s10, s2, 0x3d10
	s_add_u32 s14, s15, s14
	s_addc_u32 s4, s4, s10
	s_add_u32 s16, s14, s16
	s_addc_u32 s17, s4, s17
	s_and_b32 s14, s16, 0x3ffffff
	s_lshr_b64 s[16:17], s[16:17], 26
	s_lshl_b64 s[18:19], s[2:3], 10
	s_mul_hi_u32 s2, s33, s8
	s_mul_i32 s8, s33, s8
	s_mul_i32 s30, s37, s37
	s_mul_hi_u32 s29, s37, s37
	s_add_u32 s8, s8, s30
	s_addc_u32 s2, s2, s29
	s_add_u32 s26, s8, s26
	s_addc_u32 s27, s2, s27
	s_mul_i32 s10, s7, s39
	s_mul_i32 s28, s31, s31
	s_and_b32 s2, s26, 0x3ffffff
	s_lshr_b64 s[26:27], s[26:27], 26
	s_mul_hi_u32 s4, s7, s39
	s_mul_hi_u32 s23, s31, s31
	s_add_u32 s10, s10, s28
	s_mul_i32 s20, s9, s40
	s_addc_u32 s4, s4, s23
	s_mul_hi_u32 s15, s9, s40
	s_add_u32 s10, s10, s20
	s_mul_i32 s22, s11, s34
	s_addc_u32 s4, s4, s15
	s_mul_hi_u32 s21, s11, s34
	s_add_u32 s10, s10, s22
	s_addc_u32 s4, s4, s21
	s_add_u32 s10, s10, s18
	s_mul_i32 s29, s2, 0x3d10
	s_addc_u32 s4, s4, s19
	s_mul_hi_u32 s8, s2, 0x3d10
	s_add_u32 s10, s10, s29
	s_addc_u32 s4, s4, s8
	s_add_u32 s16, s10, s16
	s_addc_u32 s17, s4, s17
	s_lshl_b64 s[18:19], s[2:3], 10
	s_lshl_b32 s2, s6, 1
	s_and_b32 s2, s2, 0x7fffffe
	s_and_b32 s15, s16, 0x3ffffff
	s_lshr_b64 s[16:17], s[16:17], 26
	s_mul_hi_u32 s6, s33, s2
	s_mul_i32 s2, s33, s2
	s_add_u32 s26, s26, s2
	s_addc_u32 s27, s27, s6
	s_mul_i32 s8, s7, s38
	s_mul_i32 s28, s34, s13
	s_and_b32 s2, s26, 0x3ffffff
	s_lshr_b64 s[26:27], s[26:27], 26
	s_mul_hi_u32 s4, s7, s38
	s_mul_hi_u32 s23, s34, s13
	s_add_u32 s8, s8, s28
	s_mul_i32 s20, s9, s39
	s_addc_u32 s4, s4, s23
	s_mul_hi_u32 s10, s9, s39
	s_add_u32 s8, s8, s20
	s_mul_i32 s22, s11, s40
	s_addc_u32 s4, s4, s10
	s_mul_hi_u32 s21, s11, s40
	s_add_u32 s8, s8, s22
	s_addc_u32 s4, s4, s21
	s_add_u32 s8, s8, s18
	s_mul_i32 s29, s2, 0x3d10
	s_addc_u32 s4, s4, s19
	s_mul_hi_u32 s6, s2, 0x3d10
	s_add_u32 s8, s8, s29
	s_addc_u32 s4, s4, s6
	s_add_u32 s18, s8, s16
	s_addc_u32 s19, s4, s17
	s_and_b32 s16, s18, 0x3ffffff
	s_lshr_b64 s[18:19], s[18:19], 26
	s_lshl_b64 s[28:29], s[2:3], 10
	s_mul_i32 s6, s33, s33
	s_mul_hi_u32 s2, s33, s33
	s_add_u32 s6, s26, s6
	s_mul_hi_u32 s4, s7, s37
	s_mul_i32 s8, s7, s37
	s_addc_u32 s7, s27, s2
	s_mul_hi_u32 s20, s40, s13
	s_mul_i32 s13, s40, s13
	s_mul_i32 s22, s34, s34
	s_and_b32 s2, s6, 0x3ffffff
	s_lshr_b64 s[6:7], s[6:7], 26
	s_mul_hi_u32 s21, s34, s34
	s_add_u32 s13, s13, s22
	s_addc_u32 s20, s20, s21
	s_add_u32 s8, s13, s8
	s_mul_hi_u32 s10, s9, s38
	s_mul_i32 s9, s9, s38
	s_addc_u32 s4, s20, s4
	s_add_u32 s8, s8, s9
	s_mul_hi_u32 s17, s11, s39
	s_mul_i32 s11, s11, s39
	s_addc_u32 s4, s4, s10
	s_add_u32 s8, s8, s11
	s_addc_u32 s4, s4, s17
	s_add_u32 s8, s8, s28
	s_mul_i32 s26, s2, 0x3d10
	s_addc_u32 s4, s4, s29
	s_mul_hi_u32 s23, s2, 0x3d10
	s_add_u32 s8, s8, s26
	s_addc_u32 s4, s4, s23
	s_add_u32 s8, s8, s18
	s_addc_u32 s9, s4, s19
	s_and_b32 s17, s8, 0x3ffffff
	s_lshr_b64 s[8:9], s[8:9], 26
	s_lshl_b64 s[10:11], s[2:3], 10
	s_mul_i32 s4, s6, 0x3d10
	s_mul_hi_u32 s2, s6, 0x3d10
	s_add_u32 s4, s4, s5
	s_addc_u32 s2, s2, 0
	s_add_u32 s4, s4, s10
	s_addc_u32 s2, s2, s11
	;; [unrolled: 2-line block ×3, first 2 shown]
	s_and_b32 s18, s4, 0x3fffff
	s_lshr_b64 s[4:5], s[4:5], 22
	s_lshl_b64 s[6:7], s[6:7], 14
	s_add_u32 s4, s4, s6
	s_addc_u32 s5, s5, s7
	s_mul_i32 s2, s5, 0x3d1
	s_mul_hi_u32 s6, s4, 0x3d1
	s_add_i32 s2, s6, s2
	s_mul_i32 s6, s4, 0x3d1
	s_add_u32 s6, s6, s24
	s_addc_u32 s7, s2, 0
	s_and_b32 s27, s6, 0x3ffffff
	s_lshr_b64 s[6:7], s[6:7], 26
	s_lshl_b64 s[4:5], s[4:5], 6
	s_add_u32 s2, s4, s12
	s_addc_u32 s5, s5, 0
	s_add_u32 s4, s2, s6
	s_addc_u32 s5, s5, s7
	s_and_b32 s24, s4, 0x3ffffff
	s_lshr_b64 s[4:5], s[4:5], 26
	s_add_u32 s25, s4, s25
	s_addc_u32 s28, s5, 0
	s_mul_i32 s7, s28, s47
	s_mul_hi_u32 s8, s25, s47
	s_mul_i32 s22, s16, s95
	s_mul_hi_u32 s23, s16, s94
	s_add_i32 s8, s8, s7
	s_mul_i32 s10, s0, s46
	s_mul_i32 s12, s1, s82
	s_add_i32 s23, s23, s22
	s_mul_hi_u32 s9, s0, s46
	s_mul_hi_u32 s11, s1, s82
	s_add_u32 s10, s12, s10
	s_mul_i32 s19, s14, s84
	s_addc_u32 s9, s11, s9
	s_mul_hi_u32 s13, s14, s84
	s_add_u32 s10, s10, s19
	s_mul_i32 s21, s15, s83
	s_addc_u32 s9, s9, s13
	;; [unrolled: 4-line block ×3, first 2 shown]
	s_add_u32 s10, s10, s22
	v_writelane_b32 v15, s36, 6
	s_mul_i32 s29, s17, s48
	s_addc_u32 s9, s9, s23
	v_writelane_b32 v15, s35, 7
	s_mul_hi_u32 s26, s17, s48
	s_add_u32 s10, s10, s29
	v_writelane_b32 v15, s31, 8
	s_mul_i32 s31, s18, s49
	s_addc_u32 s9, s9, s26
	s_mul_hi_u32 s30, s18, s49
	s_add_u32 s10, s10, s31
	s_mul_i32 s4, s27, s70
	s_addc_u32 s9, s9, s30
	s_mul_hi_u32 s2, s27, s70
	s_add_u32 s4, s10, s4
	v_writelane_b32 v15, s37, 9
	s_mul_i32 s6, s24, s57
	s_addc_u32 s2, s9, s2
	v_writelane_b32 v15, s38, 10
	s_mul_hi_u32 s5, s24, s57
	s_add_u32 s4, s4, s6
	v_writelane_b32 v15, s39, 11
	s_mul_i32 s7, s25, s47
	s_addc_u32 s2, s2, s5
	v_writelane_b32 v15, s40, 12
	s_add_u32 s4, s4, s7
	v_writelane_b32 v15, s34, 13
	s_addc_u32 s5, s2, s8
	s_mul_i32 s9, s28, s57
	s_mul_hi_u32 s10, s25, s57
	s_mul_i32 s31, s17, s95
	s_mul_hi_u32 s34, s17, s94
	s_and_b32 s26, s4, 0x3ffffff
	s_lshr_b64 s[4:5], s[4:5], 26
	s_add_i32 s10, s10, s9
	s_mul_i32 s12, s0, s47
	s_mul_i32 s19, s1, s46
	s_add_i32 s34, s34, s31
	s_mul_hi_u32 s11, s0, s47
	s_mul_hi_u32 s13, s1, s46
	s_add_u32 s12, s19, s12
	s_mul_i32 s21, s14, s82
	s_addc_u32 s11, s13, s11
	s_mul_hi_u32 s20, s14, s82
	s_add_u32 s12, s12, s21
	s_mul_i32 s23, s15, s84
	s_addc_u32 s11, s11, s20
	;; [unrolled: 4-line block ×4, first 2 shown]
	s_add_u32 s12, s12, s31
	s_mul_i32 s36, s18, s48
	s_addc_u32 s11, s11, s34
	s_mul_hi_u32 s35, s18, s48
	s_add_u32 s12, s12, s36
	s_mul_i32 s8, s24, s70
	s_addc_u32 s11, s11, s35
	s_mul_hi_u32 s2, s24, s70
	s_add_u32 s8, s12, s8
	s_mul_i32 s9, s25, s57
	s_addc_u32 s2, s11, s2
	s_add_u32 s8, s8, s9
	s_addc_u32 s2, s2, s10
	s_add_u32 s4, s8, s4
	s_addc_u32 s5, s2, s5
	s_and_b32 s2, s4, 0x3ffffff
	s_mul_i32 s6, s27, s49
	s_lshr_b64 s[4:5], s[4:5], 26
	s_mul_i32 s9, s2, 0x3d10
	s_mul_hi_u32 s7, s27, s49
	s_mul_hi_u32 s8, s2, 0x3d10
	s_add_u32 s6, s9, s6
	s_addc_u32 s7, s8, s7
	s_lshl_b64 s[8:9], s[2:3], 10
	s_mul_i32 s2, s28, s70
	s_mul_hi_u32 s19, s25, s70
	s_mul_i32 s36, s18, s95
	s_mul_hi_u32 s37, s18, s94
	s_and_b32 s29, s6, 0x3ffffff
	s_lshr_b64 s[6:7], s[6:7], 26
	s_add_i32 s19, s19, s2
	s_mul_i32 s21, s0, s57
	s_mul_i32 s23, s1, s47
	s_add_i32 s37, s37, s36
	s_mul_hi_u32 s20, s0, s57
	s_mul_hi_u32 s22, s1, s47
	s_add_u32 s21, s23, s21
	s_mul_i32 s31, s14, s46
	s_addc_u32 s20, s22, s20
	s_mul_hi_u32 s30, s14, s46
	s_add_u32 s21, s21, s31
	s_mul_i32 s35, s15, s82
	s_addc_u32 s20, s20, s30
	s_mul_hi_u32 s34, s15, s82
	s_add_u32 s21, s21, s35
	s_mul_i32 s23, s16, s84
	s_addc_u32 s20, s20, s34
	s_mul_hi_u32 s36, s16, s84
	s_add_u32 s21, s21, s23
	s_mul_i32 s31, s17, s83
	s_addc_u32 s20, s20, s36
	s_mul_hi_u32 s22, s17, s83
	s_add_u32 s21, s21, s31
	s_mul_i32 s30, s18, s94
	s_addc_u32 s20, s20, s22
	s_add_u32 s21, s21, s30
	s_mul_i32 s2, s25, s70
	s_addc_u32 s20, s20, s37
	s_add_u32 s2, s21, s2
	s_addc_u32 s19, s20, s19
	s_add_u32 s4, s2, s4
	s_addc_u32 s5, s19, s5
	s_mul_i32 s11, s27, s48
	s_mul_i32 s13, s24, s49
	s_and_b32 s2, s4, 0x3ffffff
	s_lshr_b64 s[4:5], s[4:5], 26
	s_mul_hi_u32 s10, s27, s48
	s_mul_hi_u32 s12, s24, s49
	s_add_u32 s11, s13, s11
	s_addc_u32 s10, s12, s10
	s_add_u32 s8, s11, s8
	s_addc_u32 s9, s10, s9
	s_add_u32 s6, s8, s6
	s_mul_i32 s20, s2, 0x3d10
	s_addc_u32 s7, s9, s7
	s_mul_hi_u32 s19, s2, 0x3d10
	s_add_u32 s6, s6, s20
	s_addc_u32 s7, s7, s19
	s_lshl_b64 s[8:9], s[2:3], 10
	s_mul_i32 s2, s27, s95
	s_mul_hi_u32 s10, s27, s94
	s_add_i32 s10, s10, s2
	s_mul_i32 s2, s28, s49
	s_mul_hi_u32 s19, s25, s49
	s_and_b32 s30, s6, 0x3ffffff
	s_lshr_b64 s[6:7], s[6:7], 26
	s_add_i32 s19, s19, s2
	s_mul_i32 s21, s0, s70
	s_mul_i32 s23, s1, s57
	s_mul_hi_u32 s2, s0, s70
	s_mul_hi_u32 s22, s1, s57
	s_add_u32 s21, s23, s21
	s_addc_u32 s2, s22, s2
	s_mul_i32 s23, s14, s47
	s_mul_hi_u32 s22, s14, s47
	s_add_u32 s21, s21, s23
	s_addc_u32 s2, s2, s22
	s_mul_i32 s23, s15, s46
	;; [unrolled: 4-line block ×5, first 2 shown]
	s_mul_hi_u32 s22, s18, s83
	s_add_u32 s21, s21, s23
	s_addc_u32 s2, s2, s22
	s_add_u32 s4, s21, s4
	s_addc_u32 s5, s2, s5
	s_mul_i32 s11, s27, s94
	s_mul_i32 s13, s24, s48
	s_and_b32 s2, s4, 0x3ffffff
	s_lshr_b64 s[4:5], s[4:5], 26
	s_mul_hi_u32 s12, s24, s48
	s_add_u32 s11, s13, s11
	s_mul_i32 s20, s25, s49
	s_addc_u32 s10, s12, s10
	s_add_u32 s11, s11, s20
	s_addc_u32 s10, s10, s19
	s_add_u32 s8, s11, s8
	s_mul_i32 s22, s2, 0x3d10
	s_addc_u32 s9, s10, s9
	s_mul_hi_u32 s21, s2, 0x3d10
	s_add_u32 s8, s8, s22
	s_addc_u32 s9, s9, s21
	s_add_u32 s6, s8, s6
	s_addc_u32 s7, s9, s7
	s_lshl_b64 s[8:9], s[2:3], 10
	s_mul_i32 s2, s24, s95
	s_mul_hi_u32 s10, s24, s94
	s_add_i32 s19, s10, s2
	s_mul_i32 s2, s28, s48
	s_mul_hi_u32 s10, s25, s48
	s_and_b32 s31, s6, 0x3ffffff
	s_lshr_b64 s[6:7], s[6:7], 26
	s_add_i32 s21, s10, s2
	s_mul_i32 s10, s1, s70
	s_mul_i32 s35, s14, s57
	s_mul_hi_u32 s2, s1, s70
	s_mul_hi_u32 s11, s14, s57
	s_add_u32 s10, s35, s10
	s_addc_u32 s2, s11, s2
	s_mul_i32 s35, s15, s47
	s_mul_hi_u32 s11, s15, s47
	s_add_u32 s10, s10, s35
	s_addc_u32 s2, s2, s11
	s_mul_i32 s35, s16, s46
	;; [unrolled: 4-line block ×4, first 2 shown]
	s_mul_hi_u32 s11, s18, s84
	s_add_u32 s10, s10, s35
	s_addc_u32 s2, s2, s11
	s_add_u32 s4, s10, s4
	s_addc_u32 s5, s2, s5
	s_mul_i32 s13, s27, s83
	s_mul_i32 s34, s0, s49
	s_and_b32 s2, s4, 0x3ffffff
	s_lshr_b64 s[10:11], s[4:5], 26
	s_mul_hi_u32 s12, s27, s83
	s_mul_hi_u32 s23, s0, s49
	s_add_u32 s13, s13, s34
	s_mul_i32 s20, s24, s94
	s_addc_u32 s12, s12, s23
	s_add_u32 s13, s13, s20
	s_mul_i32 s22, s25, s48
	s_addc_u32 s12, s12, s19
	s_add_u32 s13, s13, s22
	s_addc_u32 s12, s12, s21
	s_add_u32 s8, s13, s8
	s_mul_i32 s5, s2, 0x3d10
	s_addc_u32 s9, s12, s9
	s_mul_hi_u32 s4, s2, 0x3d10
	s_add_u32 s5, s8, s5
	s_addc_u32 s8, s9, s4
	s_add_u32 s4, s5, s6
	s_addc_u32 s5, s8, s7
	s_lshl_b64 s[8:9], s[2:3], 10
	s_mul_i32 s2, s25, s95
	s_mul_hi_u32 s21, s25, s94
	s_add_i32 s2, s21, s2
	s_mul_i32 s21, s28, s94
	s_lshr_b64 s[6:7], s[4:5], 26
	s_add_i32 s21, s2, s21
	s_mul_i32 s36, s14, s70
	s_mul_i32 s37, s15, s57
	s_mul_hi_u32 s2, s14, s70
	s_add_u32 s36, s37, s36
	s_mul_hi_u32 s37, s15, s57
	s_addc_u32 s2, s37, s2
	s_mul_i32 s37, s16, s47
	s_add_u32 s36, s36, s37
	s_mul_hi_u32 s37, s16, s47
	s_addc_u32 s2, s2, s37
	s_mul_i32 s37, s17, s46
	;; [unrolled: 4-line block ×3, first 2 shown]
	s_add_u32 s36, s36, s37
	s_mul_hi_u32 s37, s18, s82
	s_addc_u32 s2, s2, s37
	s_add_u32 s10, s36, s10
	s_addc_u32 s11, s2, s11
	s_mul_i32 s34, s0, s48
	s_mul_i32 s36, s1, s49
	s_and_b32 s2, s10, 0x3ffffff
	s_lshr_b64 s[10:11], s[10:11], 26
	s_mul_hi_u32 s23, s0, s48
	s_mul_hi_u32 s35, s1, s49
	s_add_u32 s34, s36, s34
	s_mul_i32 s13, s27, s84
	s_addc_u32 s23, s35, s23
	s_mul_hi_u32 s12, s27, s84
	s_add_u32 s13, s34, s13
	s_mul_i32 s20, s24, s83
	s_addc_u32 s12, s23, s12
	;; [unrolled: 4-line block ×3, first 2 shown]
	s_add_u32 s13, s13, s22
	s_addc_u32 s12, s12, s21
	s_add_u32 s8, s13, s8
	s_mul_i32 s38, s2, 0x3d10
	s_addc_u32 s9, s12, s9
	s_mul_hi_u32 s37, s2, 0x3d10
	s_add_u32 s8, s8, s38
	s_addc_u32 s9, s9, s37
	s_add_u32 s6, s8, s6
	s_addc_u32 s7, s9, s7
	s_lshl_b64 s[12:13], s[2:3], 10
	s_mul_i32 s2, s28, s83
	s_mul_hi_u32 s23, s25, s83
	s_add_i32 s23, s23, s2
	s_mul_i32 s2, s0, s95
	s_mul_hi_u32 s35, s0, s94
	s_lshr_b64 s[8:9], s[6:7], 26
	s_add_i32 s35, s35, s2
	s_mul_i32 s36, s15, s70
	s_mul_i32 s37, s16, s57
	s_mul_hi_u32 s2, s15, s70
	s_add_u32 s36, s37, s36
	s_mul_hi_u32 s37, s16, s57
	s_addc_u32 s2, s37, s2
	s_mul_i32 s37, s17, s47
	s_add_u32 s36, s36, s37
	s_mul_hi_u32 s37, s17, s47
	s_addc_u32 s2, s2, s37
	s_mul_i32 s37, s18, s46
	s_add_u32 s36, s36, s37
	s_mul_hi_u32 s37, s18, s46
	s_addc_u32 s2, s2, s37
	s_add_u32 s10, s36, s10
	s_addc_u32 s11, s2, s11
	s_mul_i32 s36, s0, s94
	s_mul_i32 s38, s1, s48
	s_and_b32 s2, s10, 0x3ffffff
	s_lshr_b64 s[10:11], s[10:11], 26
	s_mul_hi_u32 s37, s1, s48
	s_add_u32 s36, s38, s36
	s_addc_u32 s35, s37, s35
	s_mul_i32 s37, s14, s49
	s_mul_hi_u32 s38, s14, s49
	s_add_u32 s36, s36, s37
	s_mul_i32 s20, s27, s82
	s_addc_u32 s35, s35, s38
	s_mul_hi_u32 s19, s27, s82
	s_add_u32 s20, s36, s20
	s_mul_i32 s22, s24, s84
	s_addc_u32 s19, s35, s19
	;; [unrolled: 4-line block ×3, first 2 shown]
	s_add_u32 s20, s20, s34
	s_addc_u32 s19, s19, s23
	s_add_u32 s12, s20, s12
	s_mul_i32 s38, s2, 0x3d10
	s_addc_u32 s13, s19, s13
	s_mul_hi_u32 s37, s2, 0x3d10
	s_add_u32 s12, s12, s38
	s_addc_u32 s13, s13, s37
	s_add_u32 s8, s12, s8
	s_addc_u32 s9, s13, s9
	s_lshl_b64 s[34:35], s[2:3], 10
	s_mul_i32 s2, s28, s84
	s_mul_hi_u32 s22, s25, s84
	s_add_i32 s22, s22, s2
	s_mul_i32 s2, s1, s95
	s_mul_hi_u32 s23, s1, s94
	s_lshr_b64 s[12:13], s[8:9], 26
	s_add_i32 s23, s23, s2
	s_mul_i32 s36, s16, s70
	s_mul_i32 s37, s17, s57
	s_mul_hi_u32 s2, s16, s70
	s_add_u32 s36, s37, s36
	s_mul_hi_u32 s37, s17, s57
	s_addc_u32 s2, s37, s2
	s_mul_i32 s37, s18, s47
	s_add_u32 s36, s36, s37
	s_mul_hi_u32 s37, s18, s47
	s_addc_u32 s2, s2, s37
	s_add_u32 s10, s36, s10
	s_addc_u32 s11, s2, s11
	s_mul_i32 s39, s0, s83
	s_mul_i32 s40, s1, s94
	s_and_b32 s2, s10, 0x3ffffff
	s_lshr_b64 s[36:37], s[10:11], 26
	s_add_u32 s10, s40, s39
	s_mul_hi_u32 s11, s0, s83
	s_addc_u32 s11, s23, s11
	s_mul_i32 s23, s14, s48
	s_add_u32 s10, s10, s23
	s_mul_hi_u32 s23, s14, s48
	s_addc_u32 s11, s11, s23
	s_mul_i32 s23, s15, s49
	s_add_u32 s10, s10, s23
	s_mul_hi_u32 s23, s15, s49
	s_mul_i32 s20, s27, s46
	s_addc_u32 s11, s11, s23
	s_mul_hi_u32 s19, s27, s46
	s_add_u32 s10, s10, s20
	s_mul_i32 s38, s24, s82
	s_addc_u32 s11, s11, s19
	s_mul_hi_u32 s21, s24, s82
	s_add_u32 s10, s10, s38
	s_mul_i32 s23, s25, s84
	s_addc_u32 s11, s11, s21
	s_add_u32 s10, s10, s23
	s_addc_u32 s11, s11, s22
	s_add_u32 s10, s10, s34
	s_mul_i32 s19, s2, 0x3d10
	s_addc_u32 s11, s11, s35
	s_mul_hi_u32 s20, s2, 0x3d10
	s_add_u32 s10, s10, s19
	s_addc_u32 s11, s11, s20
	s_add_u32 s10, s10, s12
	s_addc_u32 s11, s11, s13
	s_lshl_b64 s[34:35], s[2:3], 10
	s_mul_i32 s2, s28, s82
	s_mul_hi_u32 s20, s25, s82
	s_add_i32 s20, s20, s2
	s_mul_i32 s2, s14, s95
	s_mul_hi_u32 s21, s14, s94
	s_lshr_b64 s[12:13], s[10:11], 26
	s_add_i32 s21, s21, s2
	s_mul_i32 s22, s17, s70
	s_mul_i32 s23, s18, s57
	s_mul_hi_u32 s2, s17, s70
	s_add_u32 s22, s23, s22
	s_mul_hi_u32 s23, s18, s57
	s_addc_u32 s2, s23, s2
	s_add_u32 s36, s22, s36
	s_addc_u32 s37, s2, s37
	s_mul_i32 s23, s0, s84
	s_mul_i32 s38, s1, s83
	s_and_b32 s2, s36, 0x3ffffff
	s_lshr_b64 s[36:37], s[36:37], 26
	s_mul_hi_u32 s22, s0, s84
	s_add_u32 s23, s38, s23
	s_mul_hi_u32 s38, s1, s83
	s_addc_u32 s22, s38, s22
	s_mul_i32 s38, s14, s94
	s_add_u32 s23, s23, s38
	s_addc_u32 s21, s22, s21
	s_mul_i32 s22, s15, s48
	s_add_u32 s22, s23, s22
	s_mul_hi_u32 s23, s15, s48
	s_addc_u32 s21, s21, s23
	s_mul_i32 s23, s16, s49
	s_add_u32 s22, s22, s23
	s_mul_hi_u32 s23, s16, s49
	s_mul_i32 s38, s27, s47
	s_addc_u32 s21, s21, s23
	s_mul_hi_u32 s19, s27, s47
	s_add_u32 s22, s22, s38
	s_mul_i32 s38, s24, s46
	s_addc_u32 s19, s21, s19
	s_mul_hi_u32 s23, s24, s46
	s_add_u32 s22, s22, s38
	s_mul_i32 s21, s25, s82
	s_addc_u32 s19, s19, s23
	s_add_u32 s21, s22, s21
	s_addc_u32 s19, s19, s20
	s_add_u32 s20, s21, s34
	s_mul_i32 s23, s2, 0x3d10
	s_addc_u32 s19, s19, s35
	s_mul_hi_u32 s38, s2, 0x3d10
	s_add_u32 s20, s20, s23
	s_addc_u32 s19, s19, s38
	s_add_u32 s12, s20, s12
	s_addc_u32 s13, s19, s13
	s_lshl_b64 s[38:39], s[2:3], 10
	s_mul_i32 s28, s28, s46
	s_mul_hi_u32 s2, s25, s46
	v_writelane_b32 v15, s33, 14
	s_add_i32 s21, s2, s28
	s_mul_i32 s2, s15, s95
	s_mul_hi_u32 s19, s15, s94
	s_mov_b32 s28, s70
	s_lshr_b64 s[34:35], s[12:13], 26
	s_add_i32 s22, s19, s2
	s_mul_hi_u32 s2, s18, s70
	v_writelane_b32 v15, s28, 16
	s_mul_i32 s18, s18, s70
	v_writelane_b32 v15, s29, 17
	s_add_u32 s18, s36, s18
	s_addc_u32 s19, s37, s2
	v_writelane_b32 v15, s47, 18
	v_writelane_b32 v15, s46, 19
	s_mul_hi_u32 s28, s0, s82
	s_mul_i32 s36, s0, s82
	s_mul_hi_u32 s37, s1, s84
	s_mul_i32 s40, s1, s84
	s_and_b32 s2, s18, 0x3ffffff
	s_lshr_b64 s[0:1], s[18:19], 26
	v_writelane_b32 v15, s82, 20
	s_add_u32 s18, s40, s36
	v_writelane_b32 v15, s84, 21
	s_mul_hi_u32 s19, s14, s83
	s_mul_i32 s14, s14, s83
	s_addc_u32 s28, s37, s28
	v_writelane_b32 v15, s83, 22
	s_add_u32 s14, s18, s14
	v_writelane_b32 v15, s94, 23
	s_mul_i32 s15, s15, s94
	s_addc_u32 s19, s28, s19
	s_add_u32 s14, s14, s15
	s_mul_hi_u32 s36, s16, s48
	s_mul_i32 s16, s16, s48
	s_addc_u32 s19, s19, s22
	s_add_u32 s14, s14, s16
	s_mul_hi_u32 s18, s17, s49
	;; [unrolled: 4-line block ×4, first 2 shown]
	s_mul_i32 s24, s24, s47
	s_addc_u32 s16, s16, s20
	s_add_u32 s14, s14, s24
	s_mul_i32 s25, s25, s46
	s_addc_u32 s16, s16, s23
	s_add_u32 s14, s14, s25
	s_addc_u32 s16, s16, s21
	s_add_u32 s14, s14, s38
	s_mul_i32 s15, s2, 0x3d10
	s_addc_u32 s16, s16, s39
	s_mul_hi_u32 s28, s2, 0x3d10
	s_add_u32 s14, s14, s15
	s_addc_u32 s15, s16, s28
	s_add_u32 s24, s14, s34
	s_addc_u32 s25, s15, s35
	s_lshr_b64 s[14:15], s[24:25], 26
	s_lshl_b64 s[16:17], s[2:3], 10
	s_mul_i32 s18, s0, 0x3d10
	s_mul_hi_u32 s2, s0, 0x3d10
	s_add_u32 s18, s18, s26
	s_addc_u32 s2, s2, 0
	s_add_u32 s16, s18, s16
	s_addc_u32 s2, s2, s17
	;; [unrolled: 2-line block ×3, first 2 shown]
	s_lshr_b64 s[14:15], s[26:27], 22
	s_lshl_b64 s[0:1], s[0:1], 14
	s_add_u32 s0, s14, s0
	s_addc_u32 s1, s15, s1
	s_mul_i32 s2, s1, 0x3d1
	s_mul_hi_u32 s14, s0, 0x3d1
	s_add_i32 s2, s14, s2
	s_mul_i32 s14, s0, 0x3d1
	s_add_u32 s14, s14, s29
	s_addc_u32 s15, s2, 0
	s_lshr_b64 s[16:17], s[14:15], 26
	s_lshl_b64 s[0:1], s[0:1], 6
	s_add_u32 s0, s0, s30
	s_addc_u32 s1, s1, 0
	s_add_u32 s16, s0, s16
	s_addc_u32 s17, s1, s17
	s_lshr_b64 s[0:1], s[16:17], 26
	v_writelane_b32 v15, s95, 24
	s_add_u32 s0, s0, s31
	v_writelane_b32 v15, s48, 25
	s_addc_u32 s1, s1, 0
	v_writelane_b32 v15, s49, 26
	s_mov_b32 s18, 3
	s_mov_b64 s[46:47], s[14:15]
	s_mov_b64 s[44:45], s[16:17]
	;; [unrolled: 1-line block ×10, first 2 shown]
	s_mov_b32 s33, s57
.LBB0_3:                                ; =>This Inner Loop Header: Depth=1
	s_lshl_b32 s25, s30, 1
	s_lshl_b32 s31, s28, 1
	;; [unrolled: 1-line block ×4, first 2 shown]
	s_and_b32 s13, s36, 0x3ffffff
	s_and_b32 s2, s40, 0x3ffffff
	;; [unrolled: 1-line block ×6, first 2 shown]
	s_lshl_b32 s9, s38, 1
	s_and_b32 s11, s34, 0x3ffffff
	s_and_b32 s45, s15, 0x7fffffe
	s_and_b32 s43, s17, 0x7fffffe
	s_mul_i32 s51, s13, s37
	s_mul_i32 s71, s47, s2
	s_mul_hi_u32 s48, s13, s37
	s_mul_hi_u32 s55, s47, s2
	s_add_u32 s51, s51, s71
	s_mul_i32 s49, s11, s9
	s_addc_u32 s55, s48, s55
	s_mul_hi_u32 s27, s11, s9
	s_add_u32 s71, s51, s49
	s_mul_i32 s53, s7, s43
	s_addc_u32 s27, s55, s27
	s_mul_hi_u32 s23, s7, s43
	s_add_u32 s71, s71, s53
	s_mul_hi_u32 s66, s2, s2
	s_mul_i32 s67, s2, s2
	s_mul_hi_u32 s73, s2, s9
	s_mul_i32 s74, s2, s9
	s_mul_i32 s22, s5, s45
	s_mul_hi_u32 s69, s2, s45
	s_mul_i32 s70, s2, s45
	s_mul_hi_u32 s63, s2, s43
	;; [unrolled: 2-line block ×3, first 2 shown]
	s_mul_i32 s55, s2, s37
	s_addc_u32 s2, s27, s23
	s_mul_hi_u32 s20, s5, s45
	s_add_u32 s76, s71, s22
	s_addc_u32 s77, s2, s20
	s_mul_i32 s81, s13, s47
	s_and_b32 s27, s76, 0x3fffffe
	s_and_b32 s2, s46, 0x3ffffff
	s_lshr_b64 s[76:77], s[76:77], 26
	s_mul_hi_u32 s80, s13, s47
	s_mul_hi_u32 s20, s2, s2
	s_mul_i32 s22, s2, s2
	s_add_u32 s2, s81, s67
	s_mul_i32 s79, s11, s37
	s_addc_u32 s23, s80, s66
	s_mul_hi_u32 s78, s11, s37
	s_add_u32 s2, s2, s79
	s_mul_i32 s65, s7, s9
	s_addc_u32 s23, s23, s78
	s_mul_hi_u32 s25, s7, s9
	;; [unrolled: 4-line block ×3, first 2 shown]
	s_add_u32 s2, s2, s75
	s_addc_u32 s23, s23, s72
	s_add_u32 s66, s2, s76
	s_addc_u32 s67, s23, s77
	s_and_b32 s2, s66, 0x3ffffff
	s_lshr_b64 s[66:67], s[66:67], 26
	s_mul_i32 s25, s2, 0x3d10
	s_mul_hi_u32 s23, s2, 0x3d10
	s_add_u32 s76, s25, s22
	s_addc_u32 s77, s23, s20
	s_lshl_b32 s20, s40, 1
	s_lshl_b64 s[78:79], s[2:3], 10
	s_and_b32 s2, s44, 0x3ffffff
	s_and_b32 s20, s20, 0x7fffffe
	s_mul_i32 s35, s38, s39
	s_mul_hi_u32 s41, s38, s38
	s_mul_i32 s29, s38, s38
	s_mul_hi_u32 s31, s13, s13
	;; [unrolled: 2-line block ×3, first 2 shown]
	s_mul_i32 s17, s13, s9
	s_mul_i32 s85, s11, s47
	;; [unrolled: 1-line block ×3, first 2 shown]
	s_mul_hi_u32 s87, s45, s38
	s_mul_i32 s88, s45, s38
	s_mul_i32 s93, s43, s39
	s_mul_hi_u32 s94, s43, s38
	s_mul_i32 s95, s43, s38
	s_mul_hi_u32 s56, s13, s45
	;; [unrolled: 2-line block ×3, first 2 shown]
	s_mul_i32 s39, s13, s43
	s_and_b32 s25, s76, 0x3fffffd
	s_lshr_b64 s[76:77], s[76:77], 26
	s_mul_hi_u32 s22, s45, s2
	s_mul_i32 s23, s45, s2
	s_mul_hi_u32 s40, s2, s2
	s_mul_i32 s44, s2, s2
	;; [unrolled: 2-line block ×3, first 2 shown]
	s_mul_hi_u32 s84, s11, s47
	s_add_u32 s13, s85, s13
	s_mul_i32 s83, s7, s37
	s_addc_u32 s2, s84, s2
	s_mul_hi_u32 s82, s7, s37
	s_add_u32 s13, s13, s83
	s_mul_i32 s61, s5, s9
	s_addc_u32 s2, s2, s82
	s_mul_hi_u32 s60, s5, s9
	s_add_u32 s13, s13, s61
	s_addc_u32 s2, s2, s60
	s_add_u32 s60, s13, s66
	s_addc_u32 s61, s2, s67
	s_and_b32 s2, s60, 0x3ffffff
	s_lshr_b64 s[60:61], s[60:61], 26
	s_add_u32 s23, s78, s23
	s_addc_u32 s22, s79, s22
	s_add_u32 s23, s23, s76
	s_mul_i32 s66, s2, 0x3d10
	s_addc_u32 s22, s22, s77
	s_mul_hi_u32 s13, s2, 0x3d10
	s_add_u32 s66, s23, s66
	s_addc_u32 s67, s22, s13
	s_mul_i32 s65, s11, s20
	s_and_b32 s13, s66, 0x3ffffff
	s_lshl_b64 s[76:77], s[2:3], 10
	s_add_i32 s87, s87, s86
	s_lshr_b64 s[66:67], s[66:67], 26
	s_mul_hi_u32 s46, s11, s20
	s_add_u32 s2, s65, s54
	s_mul_i32 s92, s7, s47
	s_addc_u32 s22, s46, s31
	s_mul_hi_u32 s91, s7, s47
	s_add_u32 s2, s2, s92
	s_mul_i32 s90, s5, s37
	s_addc_u32 s22, s22, s91
	s_mul_hi_u32 s89, s5, s37
	s_add_u32 s2, s2, s90
	s_addc_u32 s22, s22, s89
	s_add_u32 s60, s2, s60
	s_addc_u32 s61, s22, s61
	s_and_b32 s2, s60, 0x3ffffff
	s_lshr_b64 s[60:61], s[60:61], 26
	s_add_u32 s31, s88, s44
	s_addc_u32 s40, s87, s40
	s_add_u32 s31, s31, s76
	s_mul_i32 s23, s2, 0x3d10
	s_addc_u32 s40, s40, s77
	s_mul_hi_u32 s22, s2, 0x3d10
	s_add_u32 s23, s31, s23
	s_addc_u32 s22, s40, s22
	s_add_u32 s66, s23, s66
	s_addc_u32 s67, s22, s67
	s_lshl_b32 s22, s36, 1
	s_lshl_b64 s[76:77], s[2:3], 10
	s_and_b32 s2, s30, 0x3ffffff
	s_and_b32 s22, s22, 0x7fffffe
	s_mul_hi_u32 s57, s11, s11
	s_mul_i32 s59, s11, s11
	s_mul_hi_u32 s19, s11, s45
	s_mul_i32 s21, s11, s45
	s_mul_hi_u32 s49, s11, s43
	s_mul_i32 s51, s11, s43
	s_mul_i32 s72, s7, s20
	s_and_b32 s54, s66, 0x3ffffff
	s_add_i32 s94, s94, s93
	s_lshr_b64 s[30:31], s[66:67], 26
	s_mul_hi_u32 s23, s2, s45
	s_mul_i32 s36, s2, s45
	s_mul_hi_u32 s44, s2, s43
	s_mul_i32 s46, s2, s43
	;; [unrolled: 2-line block ×5, first 2 shown]
	s_mul_hi_u32 s71, s7, s20
	s_add_u32 s11, s72, s11
	s_mul_i32 vcc_hi, s5, s47
	s_addc_u32 s2, s71, s2
	s_mul_hi_u32 vcc_lo, s5, s47
	s_add_u32 s11, s11, vcc_hi
	s_addc_u32 s2, s2, vcc_lo
	s_add_u32 s60, s11, s60
	s_addc_u32 s61, s2, s61
	s_and_b32 s2, s60, 0x3ffffff
	s_lshr_b64 s[60:61], s[60:61], 26
	s_add_u32 s36, s36, s95
	s_addc_u32 s23, s23, s94
	s_add_u32 s36, s36, s76
	s_mul_i32 s40, s2, 0x3d10
	s_addc_u32 s23, s23, s77
	s_mul_hi_u32 s11, s2, 0x3d10
	s_add_u32 s36, s36, s40
	s_addc_u32 s11, s23, s11
	s_add_u32 s30, s36, s30
	s_addc_u32 s31, s11, s31
	s_lshl_b64 s[66:67], s[2:3], 10
	s_add_i32 s2, s41, s35
	s_mul_i32 s82, s7, s22
	s_and_b32 s11, s28, 0x3ffffff
	s_lshr_b64 s[40:41], s[30:31], 26
	s_add_i32 s31, s2, s35
	s_mul_hi_u32 s81, s7, s22
	s_add_u32 s2, s82, s59
	s_mul_hi_u32 s75, s5, s20
	s_mul_i32 s20, s5, s20
	s_addc_u32 s35, s81, s57
	s_add_u32 s2, s2, s20
	s_addc_u32 s20, s35, s75
	s_add_u32 s36, s2, s60
	s_mul_hi_u32 s76, s37, s11
	s_mul_i32 s77, s37, s11
	s_addc_u32 s37, s20, s61
	s_and_b32 s2, s36, 0x3ffffff
	s_lshr_b64 s[36:37], s[36:37], 26
	s_add_u32 s29, s46, s29
	s_mul_i32 s28, s11, s45
	s_addc_u32 s31, s44, s31
	s_mul_hi_u32 s23, s11, s45
	s_add_u32 s28, s29, s28
	s_addc_u32 s23, s31, s23
	s_add_u32 s28, s28, s66
	s_mul_i32 s35, s2, 0x3d10
	s_addc_u32 s23, s23, s67
	s_mul_hi_u32 s20, s2, 0x3d10
	s_add_u32 s28, s28, s35
	s_addc_u32 s20, s23, s20
	s_add_u32 s28, s28, s40
	s_addc_u32 s29, s20, s41
	s_lshl_b64 s[40:41], s[2:3], 10
	s_lshl_b32 s2, s34, 1
	s_and_b32 s2, s2, 0x7fffffe
	s_mul_hi_u32 s62, s7, s7
	s_mul_i32 s64, s7, s7
	s_mul_hi_u32 s47, s7, s45
	s_mul_i32 s48, s7, s45
	;; [unrolled: 2-line block ×3, first 2 shown]
	s_lshr_b64 s[34:35], s[28:29], 26
	s_mul_hi_u32 s20, s2, s7
	s_mul_i32 s7, s2, s7
	s_mul_hi_u32 s23, s5, s2
	s_mul_i32 s29, s5, s2
	s_add_u32 s2, s22, s7
	s_addc_u32 s7, s83, s20
	s_add_u32 s36, s2, s36
	s_addc_u32 s37, s7, s37
	s_mul_hi_u32 s45, s11, s43
	s_mul_i32 s43, s11, s43
	s_and_b32 s2, s36, 0x3ffffff
	s_lshr_b64 s[36:37], s[36:37], 26
	s_add_u32 s22, s43, s78
	s_addc_u32 s31, s45, s65
	s_add_u32 s22, s22, s70
	s_addc_u32 s31, s31, s69
	s_add_u32 s22, s22, s40
	s_mul_i32 s20, s2, 0x3d10
	s_addc_u32 s31, s31, s41
	s_mul_hi_u32 s7, s2, 0x3d10
	s_add_u32 s20, s22, s20
	s_addc_u32 s7, s31, s7
	s_add_u32 s40, s20, s34
	s_addc_u32 s41, s7, s35
	s_lshl_b64 s[34:35], s[2:3], 10
	s_lshr_b64 s[44:45], s[40:41], 26
	s_add_u32 s2, s29, s64
	s_addc_u32 s7, s23, s62
	s_add_u32 s36, s2, s36
	s_addc_u32 s37, s7, s37
	s_mul_i32 s72, s11, s9
	s_and_b32 s2, s36, 0x3ffffff
	s_lshr_b64 s[60:61], s[36:37], 26
	s_mul_hi_u32 s71, s11, s9
	s_add_u32 s22, s72, s80
	s_addc_u32 s23, s71, s79
	s_add_u32 s22, s22, s68
	s_addc_u32 s23, s23, s63
	;; [unrolled: 2-line block ×3, first 2 shown]
	s_add_u32 s22, s22, s34
	s_mul_i32 s20, s2, 0x3d10
	s_addc_u32 s23, s23, s35
	s_mul_hi_u32 s7, s2, 0x3d10
	s_add_u32 s20, s22, s20
	s_addc_u32 s7, s23, s7
	s_add_u32 s36, s20, s44
	s_addc_u32 s37, s7, s45
	s_lshl_b64 s[34:35], s[2:3], 10
	s_lshl_b32 s2, s42, 1
	s_and_b32 s2, s2, 0x7fffffe
	s_lshr_b64 s[42:43], s[36:37], 26
	s_mul_hi_u32 s7, s2, s5
	s_mul_i32 s2, s2, s5
	s_add_u32 s44, s60, s2
	s_addc_u32 s45, s61, s7
	s_and_b32 s2, s44, 0x3ffffff
	s_lshr_b64 s[44:45], s[44:45], 26
	s_add_u32 s20, s74, s77
	s_addc_u32 s22, s73, s76
	s_add_u32 s20, s20, s39
	s_addc_u32 s22, s22, s38
	;; [unrolled: 2-line block ×3, first 2 shown]
	s_add_u32 s20, s20, s34
	s_mul_i32 s7, s2, 0x3d10
	s_addc_u32 s19, s19, s35
	s_mul_hi_u32 s50, s5, s5
	s_mul_i32 s52, s5, s5
	s_mul_hi_u32 s5, s2, 0x3d10
	s_add_u32 s7, s20, s7
	s_addc_u32 s5, s19, s5
	s_add_u32 s34, s7, s42
	s_addc_u32 s35, s5, s43
	s_lshl_b64 s[42:43], s[2:3], 10
	s_lshr_b64 s[38:39], s[34:35], 26
	s_add_u32 s44, s44, s52
	s_addc_u32 s45, s45, s50
	s_mul_hi_u32 s9, s11, s11
	s_mul_i32 s11, s11, s11
	s_and_b32 s2, s44, 0x3ffffff
	s_lshr_b64 s[44:45], s[44:45], 26
	s_add_u32 s11, s55, s11
	s_addc_u32 s9, s53, s9
	s_add_u32 s11, s11, s17
	s_addc_u32 s9, s9, s15
	;; [unrolled: 2-line block ×4, first 2 shown]
	s_add_u32 s11, s11, s42
	s_mul_i32 s7, s2, 0x3d10
	s_addc_u32 s9, s9, s43
	s_mul_hi_u32 s5, s2, 0x3d10
	s_add_u32 s7, s11, s7
	s_addc_u32 s5, s9, s5
	s_add_u32 s42, s7, s38
	s_addc_u32 s43, s5, s39
	s_mul_i32 s20, s44, 0x3d10
	s_lshl_b64 s[38:39], s[2:3], 10
	s_lshr_b64 s[46:47], s[42:43], 26
	s_mul_hi_u32 s19, s44, 0x3d10
	s_add_u32 s2, s20, s27
	s_addc_u32 s5, s19, 0
	s_add_u32 s2, s2, s38
	s_addc_u32 s5, s5, s39
	s_add_u32 s48, s2, s46
	s_addc_u32 s49, s5, s47
	s_lshl_b64 s[38:39], s[44:45], 14
	s_lshr_b64 s[44:45], s[48:49], 22
	s_add_u32 s38, s44, s38
	s_addc_u32 s39, s45, s39
	s_mul_hi_u32 s2, s38, 0x3d1
	s_mul_i32 s7, s39, 0x3d1
	s_mul_i32 s5, s38, 0x3d1
	s_add_i32 s2, s2, s7
	s_add_u32 s46, s5, s25
	s_addc_u32 s47, s2, 0
	s_lshl_b64 s[38:39], s[38:39], 6
	s_lshr_b64 s[44:45], s[46:47], 26
	s_add_u32 s2, s38, s13
	s_addc_u32 s5, s39, 0
	s_add_u32 s44, s2, s44
	s_addc_u32 s45, s5, s45
	s_lshr_b64 s[38:39], s[44:45], 26
	s_add_u32 s38, s38, s54
	s_addc_u32 s39, s39, 0
	s_add_i32 s18, s18, -1
	s_cmp_lg_u32 s18, 0
	s_cbranch_scc1 .LBB0_3
; %bb.4:
	s_and_b32 s90, s12, 0x3ffffff
	s_and_b32 s27, s34, 0x3ffffff
	;; [unrolled: 1-line block ×3, first 2 shown]
	s_mul_i32 s11, s39, s90
	s_mul_hi_u32 s12, s38, s90
	s_and_b32 s18, s30, 0x3ffffff
	s_and_b32 s91, s10, 0x3ffffff
	;; [unrolled: 1-line block ×4, first 2 shown]
	s_mul_i32 s22, s27, s1
	s_mul_hi_u32 s23, s27, s0
	s_and_b32 s15, s46, 0x3ffffff
	s_and_b32 s88, s26, 0x3fffff
	;; [unrolled: 1-line block ×3, first 2 shown]
	s_add_i32 s12, s12, s11
	s_mul_i32 s13, s18, s91
	s_mul_i32 s19, s24, s92
	s_and_b32 s25, s40, 0x3ffffff
	s_and_b32 s93, s6, 0x3ffffff
	s_and_b32 s26, s36, 0x3ffffff
	s_and_b32 s94, s4, 0x3ffffff
	s_add_i32 s23, s23, s22
	s_and_b32 s28, s42, 0x3ffffff
	s_and_b32 s95, s16, 0x3ffffff
	;; [unrolled: 1-line block ×3, first 2 shown]
	s_and_b32 vcc_lo, s14, 0x3ffffff
	s_mul_hi_u32 s10, s18, s91
	s_mul_hi_u32 s8, s24, s92
	s_add_u32 s13, s19, s13
	s_mul_i32 s20, s25, s93
	s_addc_u32 s8, s8, s10
	s_mul_hi_u32 s6, s25, s93
	s_add_u32 s10, s13, s20
	s_mul_i32 s21, s26, s94
	s_addc_u32 s6, s8, s6
	;; [unrolled: 4-line block ×3, first 2 shown]
	s_add_u32 s6, s8, s22
	s_mul_i32 s30, s28, s95
	s_addc_u32 s4, s4, s23
	s_mul_hi_u32 s16, s28, s95
	s_add_u32 s6, s6, s30
	s_mul_i32 s31, s29, vcc_lo
	s_addc_u32 s4, s4, s16
	s_mul_hi_u32 s14, s29, vcc_lo
	s_add_u32 s6, s6, s31
	s_mul_i32 s5, s15, s88
	s_addc_u32 s4, s4, s14
	s_mul_hi_u32 s2, s15, s88
	s_add_u32 s5, s6, s5
	s_mul_i32 s9, s17, s89
	s_addc_u32 s2, s4, s2
	s_mul_hi_u32 s7, s17, s89
	s_add_u32 s4, s5, s9
	s_mul_i32 s11, s38, s90
	s_addc_u32 s2, s2, s7
	s_add_u32 s4, s4, s11
	s_addc_u32 s5, s2, s12
	s_mul_i32 s9, s39, s89
	s_mul_hi_u32 s10, s38, s89
	s_mul_i32 s31, s28, s1
	s_mul_hi_u32 s34, s28, s0
	s_and_b32 s16, s4, 0x3ffffff
	s_lshr_b64 s[4:5], s[4:5], 26
	s_add_i32 s10, s10, s9
	s_mul_i32 s12, s18, s90
	s_mul_i32 s14, s24, s91
	s_add_i32 s34, s34, s31
	s_mul_hi_u32 s11, s18, s90
	s_mul_hi_u32 s13, s24, s91
	s_add_u32 s12, s14, s12
	s_mul_i32 s20, s25, s92
	s_addc_u32 s11, s13, s11
	s_mul_hi_u32 s19, s25, s92
	s_add_u32 s12, s12, s20
	s_mul_i32 s22, s26, s93
	s_addc_u32 s11, s11, s19
	;; [unrolled: 4-line block ×4, first 2 shown]
	s_add_u32 s12, s12, s31
	s_mul_i32 s36, s29, s95
	s_addc_u32 s11, s11, s34
	s_mul_hi_u32 s35, s29, s95
	s_add_u32 s12, s12, s36
	s_mul_i32 s8, s17, s88
	s_addc_u32 s11, s11, s35
	s_mul_hi_u32 s2, s17, s88
	s_add_u32 s8, s12, s8
	s_mul_i32 s9, s38, s89
	s_addc_u32 s2, s11, s2
	s_add_u32 s8, s8, s9
	s_addc_u32 s2, s2, s10
	s_add_u32 s4, s8, s4
	s_addc_u32 s5, s2, s5
	s_and_b32 s2, s4, 0x3ffffff
	s_mul_i32 s6, s15, vcc_lo
	s_lshr_b64 s[4:5], s[4:5], 26
	s_mul_i32 s9, s2, 0x3d10
	s_mov_b32 s3, 0
	s_mul_hi_u32 s7, s15, vcc_lo
	s_mul_hi_u32 s8, s2, 0x3d10
	s_add_u32 s6, s9, s6
	s_addc_u32 s7, s8, s7
	s_lshl_b64 s[8:9], s[2:3], 10
	s_mul_i32 s2, s39, s88
	s_mul_hi_u32 s14, s38, s88
	s_mul_i32 s42, s29, s1
	s_mul_hi_u32 s43, s29, s0
	s_and_b32 s30, s6, 0x3ffffff
	s_lshr_b64 s[6:7], s[6:7], 26
	s_add_i32 s14, s14, s2
	s_mul_i32 s20, s18, s89
	s_mul_i32 s22, s24, s90
	s_add_i32 s43, s43, s42
	s_mul_hi_u32 s19, s18, s89
	s_mul_hi_u32 s21, s24, s90
	s_add_u32 s20, s22, s20
	s_mul_i32 s31, s25, s91
	s_addc_u32 s19, s21, s19
	s_mul_hi_u32 s23, s25, s91
	s_add_u32 s20, s20, s31
	s_mul_i32 s35, s26, s92
	s_addc_u32 s19, s19, s23
	;; [unrolled: 4-line block ×5, first 2 shown]
	s_add_u32 s20, s20, s42
	s_mul_i32 s2, s38, s88
	s_addc_u32 s19, s19, s43
	s_add_u32 s2, s20, s2
	s_addc_u32 s14, s19, s14
	s_add_u32 s4, s2, s4
	s_addc_u32 s5, s14, s5
	s_mul_i32 s11, s15, s95
	s_mul_i32 s13, s17, vcc_lo
	s_and_b32 s2, s4, 0x3ffffff
	s_lshr_b64 s[4:5], s[4:5], 26
	s_mul_hi_u32 s10, s15, s95
	s_mul_hi_u32 s12, s17, vcc_lo
	s_add_u32 s11, s13, s11
	s_addc_u32 s10, s12, s10
	s_add_u32 s8, s11, s8
	s_addc_u32 s9, s10, s9
	s_add_u32 s6, s8, s6
	s_mul_i32 s19, s2, 0x3d10
	s_addc_u32 s7, s9, s7
	s_mul_hi_u32 s14, s2, 0x3d10
	s_add_u32 s6, s6, s19
	s_addc_u32 s7, s7, s14
	s_lshl_b64 s[8:9], s[2:3], 10
	s_mul_i32 s2, s15, s1
	s_mul_hi_u32 s10, s15, s0
	s_add_i32 s10, s10, s2
	s_mul_i32 s2, s39, vcc_lo
	s_mul_hi_u32 s14, s38, vcc_lo
	s_and_b32 s31, s6, 0x3ffffff
	s_lshr_b64 s[6:7], s[6:7], 26
	s_add_i32 s14, s14, s2
	s_mul_i32 s20, s18, s88
	s_mul_i32 s22, s24, s89
	s_mul_hi_u32 s2, s18, s88
	s_mul_hi_u32 s21, s24, s89
	s_add_u32 s20, s22, s20
	s_mul_i32 s34, s25, s90
	s_addc_u32 s2, s21, s2
	s_mul_hi_u32 s23, s25, s90
	s_add_u32 s20, s20, s34
	s_mul_i32 s36, s26, s91
	s_addc_u32 s2, s2, s23
	;; [unrolled: 4-line block ×5, first 2 shown]
	s_mul_hi_u32 s43, s29, s94
	s_add_u32 s20, s20, s44
	s_addc_u32 s2, s2, s43
	s_add_u32 s4, s20, s4
	s_addc_u32 s5, s2, s5
	s_mul_i32 s11, s15, s0
	s_mul_i32 s13, s17, s95
	s_and_b32 s2, s4, 0x3ffffff
	s_lshr_b64 s[4:5], s[4:5], 26
	s_mul_hi_u32 s12, s17, s95
	s_add_u32 s11, s13, s11
	s_mul_i32 s19, s38, vcc_lo
	s_addc_u32 s10, s12, s10
	s_add_u32 s11, s11, s19
	s_addc_u32 s10, s10, s14
	s_add_u32 s8, s11, s8
	s_mul_i32 s21, s2, 0x3d10
	s_addc_u32 s9, s10, s9
	s_mul_hi_u32 s20, s2, 0x3d10
	s_add_u32 s8, s8, s21
	s_addc_u32 s9, s9, s20
	s_add_u32 s6, s8, s6
	s_addc_u32 s7, s9, s7
	s_lshl_b64 s[8:9], s[2:3], 10
	s_mul_i32 s2, s17, s1
	s_mul_hi_u32 s10, s17, s0
	s_add_i32 s14, s10, s2
	s_mul_i32 s2, s39, s95
	s_mul_hi_u32 s10, s38, s95
	s_and_b32 s34, s6, 0x3ffffff
	s_lshr_b64 s[6:7], s[6:7], 26
	s_add_i32 s20, s10, s2
	s_mul_i32 s10, s24, s88
	s_mul_i32 s35, s25, s89
	s_mul_hi_u32 s2, s24, s88
	s_mul_hi_u32 s11, s25, s89
	s_add_u32 s10, s35, s10
	s_mul_i32 s37, s26, s90
	s_addc_u32 s2, s11, s2
	s_mul_hi_u32 s36, s26, s90
	s_add_u32 s10, s10, s37
	s_mul_i32 s41, s27, s91
	s_addc_u32 s2, s2, s36
	;; [unrolled: 4-line block ×4, first 2 shown]
	s_mul_hi_u32 s44, s29, s93
	s_add_u32 s10, s10, s45
	s_addc_u32 s2, s2, s44
	s_add_u32 s4, s10, s4
	s_addc_u32 s5, s2, s5
	s_mul_i32 s13, s15, s94
	s_mul_i32 s23, s18, vcc_lo
	s_and_b32 s2, s4, 0x3ffffff
	s_lshr_b64 s[10:11], s[4:5], 26
	s_mul_hi_u32 s12, s15, s94
	s_mul_hi_u32 s22, s18, vcc_lo
	s_add_u32 s13, s13, s23
	s_mul_i32 s19, s17, s0
	s_addc_u32 s12, s12, s22
	s_add_u32 s13, s13, s19
	s_mul_i32 s21, s38, s95
	s_addc_u32 s12, s12, s14
	s_add_u32 s13, s13, s21
	s_addc_u32 s12, s12, s20
	s_add_u32 s8, s13, s8
	s_mul_i32 s5, s2, 0x3d10
	s_addc_u32 s9, s12, s9
	s_mul_hi_u32 s4, s2, 0x3d10
	s_add_u32 s5, s8, s5
	s_addc_u32 s8, s9, s4
	s_add_u32 s4, s5, s6
	s_addc_u32 s5, s8, s7
	s_lshl_b64 s[8:9], s[2:3], 10
	s_mul_i32 s2, s38, s1
	s_mul_hi_u32 s19, s38, s0
	s_add_i32 s2, s19, s2
	s_mul_i32 s19, s39, s0
	s_lshr_b64 s[6:7], s[4:5], 26
	s_add_i32 s19, s2, s19
	s_mul_i32 s36, s25, s88
	s_mul_i32 s40, s26, s89
	s_mul_hi_u32 s2, s25, s88
	s_mul_hi_u32 s37, s26, s89
	s_add_u32 s36, s40, s36
	s_mul_i32 s42, s27, s90
	s_addc_u32 s2, s37, s2
	s_mul_hi_u32 s41, s27, s90
	s_add_u32 s36, s36, s42
	s_mul_i32 s44, s28, s91
	s_addc_u32 s2, s2, s41
	;; [unrolled: 4-line block ×3, first 2 shown]
	s_mul_hi_u32 s45, s29, s92
	s_add_u32 s36, s36, s46
	s_addc_u32 s2, s2, s45
	s_add_u32 s10, s36, s10
	s_addc_u32 s11, s2, s11
	s_mul_i32 s22, s18, s95
	s_mul_i32 s35, s24, vcc_lo
	s_and_b32 s2, s10, 0x3ffffff
	s_lshr_b64 s[10:11], s[10:11], 26
	s_mul_hi_u32 s21, s18, s95
	s_mul_hi_u32 s23, s24, vcc_lo
	s_add_u32 s22, s35, s22
	s_mul_i32 s12, s15, s93
	s_addc_u32 s21, s23, s21
	s_mul_hi_u32 s5, s15, s93
	s_add_u32 s12, s22, s12
	s_mul_i32 s14, s17, s94
	s_addc_u32 s5, s21, s5
	s_mul_hi_u32 s13, s17, s94
	s_add_u32 s12, s12, s14
	s_mul_i32 s20, s38, s0
	s_addc_u32 s5, s5, s13
	s_add_u32 s12, s12, s20
	s_addc_u32 s5, s5, s19
	s_add_u32 s8, s12, s8
	s_mul_i32 s37, s2, 0x3d10
	s_addc_u32 s5, s5, s9
	s_mul_hi_u32 s36, s2, 0x3d10
	s_add_u32 s8, s8, s37
	s_addc_u32 s5, s5, s36
	s_add_u32 s6, s8, s6
	s_addc_u32 s7, s5, s7
	s_lshl_b64 s[12:13], s[2:3], 10
	s_mul_i32 s2, s39, s94
	s_mul_hi_u32 s20, s38, s94
	s_add_i32 s20, s20, s2
	s_mul_i32 s2, s18, s1
	s_mul_hi_u32 s22, s18, s0
	s_lshr_b64 s[8:9], s[6:7], 26
	s_add_i32 s22, s22, s2
	s_mul_i32 s41, s26, s88
	s_mul_i32 s43, s27, s89
	s_mul_hi_u32 s2, s26, s88
	s_mul_hi_u32 s42, s27, s89
	s_add_u32 s41, s43, s41
	s_mul_i32 s45, s28, s90
	s_addc_u32 s2, s42, s2
	s_mul_hi_u32 s44, s28, s90
	s_add_u32 s41, s41, s45
	s_mul_i32 s47, s29, s91
	s_addc_u32 s2, s2, s44
	s_mul_hi_u32 s46, s29, s91
	s_add_u32 s41, s41, s47
	s_addc_u32 s2, s2, s46
	s_add_u32 s10, s41, s10
	s_addc_u32 s11, s2, s11
	s_mul_i32 s23, s18, s0
	s_mul_i32 s36, s24, s95
	s_and_b32 s2, s10, 0x3ffffff
	s_lshr_b64 s[10:11], s[10:11], 26
	s_mul_hi_u32 s35, s24, s95
	s_add_u32 s23, s36, s23
	s_mul_i32 s40, s25, vcc_lo
	s_addc_u32 s22, s35, s22
	s_mul_hi_u32 s37, s25, vcc_lo
	s_add_u32 s23, s23, s40
	s_mul_i32 s7, s15, s92
	s_addc_u32 s22, s22, s37
	s_mul_hi_u32 s5, s15, s92
	s_add_u32 s7, s23, s7
	s_mul_i32 s19, s17, s93
	s_addc_u32 s5, s22, s5
	s_mul_hi_u32 s14, s17, s93
	s_add_u32 s7, s7, s19
	s_mul_i32 s21, s38, s94
	s_addc_u32 s5, s5, s14
	s_add_u32 s7, s7, s21
	s_addc_u32 s5, s5, s20
	s_add_u32 s7, s7, s12
	s_mul_i32 s42, s2, 0x3d10
	s_addc_u32 s5, s5, s13
	s_mul_hi_u32 s41, s2, 0x3d10
	s_add_u32 s7, s7, s42
	s_addc_u32 s5, s5, s41
	s_add_u32 s8, s7, s8
	s_addc_u32 s9, s5, s9
	s_lshl_b64 s[36:37], s[2:3], 10
	s_mul_i32 s2, s39, s93
	s_mul_hi_u32 s19, s38, s93
	s_add_i32 s19, s19, s2
	s_mul_i32 s2, s24, s1
	s_mul_hi_u32 s23, s24, s0
	s_lshr_b64 s[12:13], s[8:9], 26
	s_add_i32 s23, s23, s2
	s_mul_i32 s40, s27, s88
	s_mul_i32 s46, s28, s89
	s_mul_hi_u32 s2, s27, s88
	s_mul_hi_u32 s41, s28, s89
	s_add_u32 s40, s46, s40
	s_mul_i32 s48, s29, s90
	s_addc_u32 s2, s41, s2
	s_mul_hi_u32 s47, s29, s90
	s_add_u32 s40, s40, s48
	s_addc_u32 s2, s2, s47
	s_add_u32 s10, s40, s10
	s_addc_u32 s11, s2, s11
	s_mul_i32 s22, s18, s94
	s_mul_i32 s35, s24, s0
	s_and_b32 s2, s10, 0x3ffffff
	s_lshr_b64 s[40:41], s[10:11], 26
	s_mul_hi_u32 s21, s18, s94
	s_add_u32 s22, s35, s22
	s_mul_i32 s43, s25, s95
	s_addc_u32 s21, s23, s21
	s_mul_hi_u32 s42, s25, s95
	s_add_u32 s22, s22, s43
	s_mul_i32 s45, s26, vcc_lo
	s_addc_u32 s21, s21, s42
	s_mul_hi_u32 s44, s26, vcc_lo
	s_add_u32 s22, s22, s45
	s_mul_i32 s7, s15, s91
	s_addc_u32 s21, s21, s44
	s_mul_hi_u32 s5, s15, s91
	s_add_u32 s7, s22, s7
	s_mul_i32 s14, s17, s92
	s_addc_u32 s5, s21, s5
	s_mul_hi_u32 s9, s17, s92
	s_add_u32 s7, s7, s14
	s_mul_i32 s20, s38, s93
	s_addc_u32 s5, s5, s9
	s_add_u32 s7, s7, s20
	s_addc_u32 s5, s5, s19
	s_add_u32 s7, s7, s36
	s_mul_i32 s11, s2, 0x3d10
	s_addc_u32 s5, s5, s37
	s_mul_hi_u32 s10, s2, 0x3d10
	s_add_u32 s7, s7, s11
	s_addc_u32 s5, s5, s10
	s_add_u32 s10, s7, s12
	s_addc_u32 s11, s5, s13
	s_lshl_b64 s[36:37], s[2:3], 10
	s_mul_i32 s2, s39, s92
	s_mul_hi_u32 s14, s38, s92
	s_add_i32 s14, s14, s2
	s_mul_i32 s2, s25, s1
	s_mul_hi_u32 s35, s25, s0
	s_lshr_b64 s[12:13], s[10:11], 26
	s_add_i32 s35, s35, s2
	s_mul_i32 s46, s28, s88
	s_mul_i32 s47, s29, s89
	s_mul_hi_u32 s2, s28, s88
	s_add_u32 s46, s47, s46
	s_mul_hi_u32 s47, s29, s89
	s_addc_u32 s2, s47, s2
	s_add_u32 s40, s46, s40
	s_addc_u32 s41, s2, s41
	s_mul_i32 s21, s18, s93
	s_mul_i32 s23, s24, s94
	s_and_b32 s2, s40, 0x3ffffff
	s_lshr_b64 s[40:41], s[40:41], 26
	s_mul_hi_u32 s20, s18, s93
	s_mul_hi_u32 s22, s24, s94
	s_add_u32 s21, s23, s21
	s_mul_i32 s42, s25, s0
	s_addc_u32 s20, s22, s20
	s_add_u32 s21, s21, s42
	s_mul_i32 s44, s26, s95
	s_addc_u32 s20, s20, s35
	s_mul_hi_u32 s43, s26, s95
	s_add_u32 s21, s21, s44
	s_mul_i32 s46, s27, vcc_lo
	s_addc_u32 s20, s20, s43
	s_mul_hi_u32 s45, s27, vcc_lo
	s_add_u32 s21, s21, s46
	s_mul_i32 s7, s15, s90
	s_addc_u32 s20, s20, s45
	s_mul_hi_u32 s5, s15, s90
	s_add_u32 s7, s21, s7
	s_mul_i32 s11, s17, s91
	s_addc_u32 s5, s20, s5
	s_mul_hi_u32 s9, s17, s91
	s_add_u32 s7, s7, s11
	s_mul_i32 s19, s38, s92
	s_addc_u32 s5, s5, s9
	s_add_u32 s7, s7, s19
	s_addc_u32 s5, s5, s14
	s_add_u32 s7, s7, s36
	s_mul_i32 s48, s2, 0x3d10
	s_addc_u32 s5, s5, s37
	s_mul_hi_u32 s47, s2, 0x3d10
	s_add_u32 s7, s7, s48
	s_addc_u32 s5, s5, s47
	s_add_u32 s12, s7, s12
	s_addc_u32 s13, s5, s13
	s_lshl_b64 s[42:43], s[2:3], 10
	s_mul_i32 s2, s39, s91
	s_mul_hi_u32 s11, s38, s91
	s_add_i32 s11, s11, s2
	s_mul_i32 s2, s26, s1
	s_mul_hi_u32 s14, s26, s0
	s_lshr_b64 s[36:37], s[12:13], 26
	s_add_i32 s35, s14, s2
	s_mul_hi_u32 s2, s29, s88
	s_mul_i32 s29, s29, s88
	s_add_u32 s14, s40, s29
	s_mul_hi_u32 s5, s15, s89
	s_mul_i32 s7, s15, s89
	s_addc_u32 s15, s41, s2
	s_mul_hi_u32 s20, s18, s92
	s_mul_i32 s21, s18, s92
	s_mul_hi_u32 s22, s24, s93
	s_mul_i32 s24, s24, s93
	s_and_b32 s2, s14, 0x3ffffff
	s_lshr_b64 s[18:19], s[14:15], 26
	s_add_u32 s21, s24, s21
	s_mul_hi_u32 s23, s25, s94
	s_mul_i32 s25, s25, s94
	s_addc_u32 s20, s22, s20
	s_add_u32 s21, s21, s25
	s_mul_i32 s26, s26, s0
	s_addc_u32 s20, s20, s23
	s_add_u32 s21, s21, s26
	s_mul_i32 s13, s38, s91
	s_mul_hi_u32 s38, s27, s95
	s_mul_i32 s27, s27, s95
	s_addc_u32 s20, s20, s35
	s_add_u32 s21, s21, s27
	s_mul_hi_u32 s39, s28, vcc_lo
	s_mul_i32 s28, s28, vcc_lo
	s_addc_u32 s20, s20, s38
	s_add_u32 s21, s21, s28
	s_addc_u32 s20, s20, s39
	s_add_u32 s7, s21, s7
	s_mul_hi_u32 s9, s17, s90
	s_mul_i32 s17, s17, s90
	s_addc_u32 s5, s20, s5
	s_add_u32 s7, s7, s17
	s_addc_u32 s5, s5, s9
	s_add_u32 s7, s7, s13
	;; [unrolled: 2-line block ×3, first 2 shown]
	s_mul_i32 s15, s2, 0x3d10
	s_addc_u32 s5, s5, s43
	s_mul_hi_u32 s14, s2, 0x3d10
	s_add_u32 s7, s7, s15
	s_addc_u32 s5, s5, s14
	s_add_u32 s14, s7, s36
	s_addc_u32 s15, s5, s37
	s_lshr_b64 s[24:25], s[14:15], 26
	s_lshl_b64 s[26:27], s[2:3], 10
	s_mul_i32 s5, s18, 0x3d10
	s_mul_hi_u32 s2, s18, 0x3d10
	s_add_u32 s5, s5, s16
	s_addc_u32 s2, s2, 0
	s_add_u32 s5, s5, s26
	s_addc_u32 s2, s2, s27
	;; [unrolled: 2-line block ×3, first 2 shown]
	s_lshr_b64 s[16:17], s[26:27], 22
	s_lshl_b64 s[18:19], s[18:19], 14
	s_add_u32 s16, s16, s18
	s_addc_u32 s17, s17, s19
	s_mul_i32 s2, s17, 0x3d1
	s_mul_hi_u32 s5, s16, 0x3d1
	s_add_i32 s5, s5, s2
	s_mul_i32 s2, s16, 0x3d1
	s_add_u32 s24, s2, s30
	s_addc_u32 s25, s5, 0
	s_lshr_b64 s[18:19], s[24:25], 26
	s_lshl_b64 s[16:17], s[16:17], 6
	s_add_u32 s2, s16, s31
	s_addc_u32 s5, s17, 0
	s_add_u32 s16, s2, s18
	s_addc_u32 s17, s5, s19
	s_lshr_b64 s[18:19], s[16:17], 26
	s_add_u32 s15, s18, s34
	s_addc_u32 s17, s19, 0
	s_mov_b32 s18, 3
.LBB0_5:                                ; =>This Inner Loop Header: Depth=1
	s_lshl_b32 s28, s4, 1
	s_lshl_b32 s30, s6, 1
	s_and_b32 s13, s26, 0x3fffff
	s_lshl_b32 s26, s24, 1
	s_lshl_b32 s27, s16, 1
	s_and_b32 s11, s10, 0x3ffffff
	s_and_b32 s2, s8, 0x3ffffff
	;; [unrolled: 1-line block ×5, first 2 shown]
	s_lshl_b32 s7, s15, 1
	s_and_b32 s5, s12, 0x3ffffff
	s_and_b32 s46, s26, 0x7fffffe
	s_and_b32 s45, s27, 0x7fffffe
	s_mul_i32 s36, s11, s43
	s_mul_i32 s64, s30, s2
	s_mul_hi_u32 s31, s11, s43
	s_mul_hi_u32 s41, s30, s2
	s_add_u32 s36, s36, s64
	s_mul_i32 s34, s5, s7
	s_addc_u32 s41, s31, s41
	s_mul_hi_u32 s29, s5, s7
	s_add_u32 s64, s36, s34
	s_mul_i32 s39, s9, s45
	s_addc_u32 s29, s41, s29
	s_mul_hi_u32 s23, s9, s45
	s_add_u32 s64, s64, s39
	s_mul_hi_u32 s54, s2, s2
	s_mul_i32 s55, s2, s2
	s_mul_hi_u32 s57, s2, s7
	s_mul_i32 s59, s2, s7
	s_mul_i32 s22, s13, s46
	s_mul_hi_u32 s62, s2, s46
	s_mul_i32 s63, s2, s46
	s_mul_hi_u32 s60, s2, s45
	;; [unrolled: 2-line block ×3, first 2 shown]
	s_mul_i32 s41, s2, s43
	s_addc_u32 s2, s29, s23
	s_mul_hi_u32 s20, s13, s46
	s_add_u32 s64, s64, s22
	s_addc_u32 s65, s2, s20
	s_mul_i32 s71, s11, s30
	s_and_b32 s29, s64, 0x3fffffe
	s_and_b32 s2, s24, 0x3ffffff
	s_lshr_b64 s[64:65], s[64:65], 26
	s_mul_hi_u32 s70, s11, s30
	s_mul_hi_u32 s20, s2, s2
	s_mul_i32 s22, s2, s2
	s_add_u32 s2, s71, s55
	s_mul_i32 s69, s5, s43
	s_addc_u32 s23, s70, s54
	s_mul_hi_u32 s68, s5, s43
	s_add_u32 s2, s2, s69
	s_mul_i32 s53, s9, s7
	s_addc_u32 s23, s23, s68
	s_mul_hi_u32 s28, s9, s7
	;; [unrolled: 4-line block ×3, first 2 shown]
	s_add_u32 s2, s2, s67
	s_addc_u32 s23, s23, s66
	s_add_u32 s54, s2, s64
	s_addc_u32 s55, s23, s65
	s_and_b32 s2, s54, 0x3ffffff
	s_lshr_b64 s[54:55], s[54:55], 26
	s_mul_i32 s24, s2, 0x3d10
	s_mul_hi_u32 s23, s2, 0x3d10
	s_add_u32 s64, s24, s22
	s_addc_u32 s65, s23, s20
	s_lshl_b32 s8, s8, 1
	s_lshl_b64 s[66:67], s[2:3], 10
	s_and_b32 s2, s16, 0x3ffffff
	s_and_b32 s8, s8, 0x7fffffe
	s_mul_hi_u32 s40, s11, s11
	s_mul_i32 s49, s11, s11
	s_mul_hi_u32 s26, s11, s7
	s_mul_i32 s27, s11, s7
	s_mul_i32 s75, s5, s30
	s_mul_hi_u32 s56, s11, s46
	s_mul_i32 s58, s11, s46
	s_mul_hi_u32 s19, s11, s45
	s_mul_i32 s21, s11, s45
	s_and_b32 s28, s64, 0x3fffffd
	s_lshr_b64 s[64:65], s[64:65], 26
	s_mul_hi_u32 s16, s46, s2
	s_mul_i32 s20, s46, s2
	s_mul_hi_u32 s22, s2, s2
	s_mul_i32 s23, s2, s2
	;; [unrolled: 2-line block ×3, first 2 shown]
	s_mul_hi_u32 s74, s5, s30
	s_add_u32 s11, s75, s11
	s_mul_i32 s73, s9, s43
	s_addc_u32 s2, s74, s2
	s_mul_hi_u32 s72, s9, s43
	s_add_u32 s11, s11, s73
	s_mul_i32 s50, s13, s7
	s_addc_u32 s2, s2, s72
	s_mul_hi_u32 s38, s13, s7
	s_add_u32 s11, s11, s50
	s_addc_u32 s2, s2, s38
	s_add_u32 s54, s11, s54
	s_addc_u32 s55, s2, s55
	s_and_b32 s2, s54, 0x3ffffff
	s_lshr_b64 s[54:55], s[54:55], 26
	s_add_u32 s20, s66, s20
	s_addc_u32 s16, s67, s16
	s_add_u32 s20, s20, s64
	s_mul_i32 s38, s2, 0x3d10
	s_addc_u32 s16, s16, s65
	s_mul_hi_u32 s11, s2, 0x3d10
	s_add_u32 s64, s20, s38
	s_mul_i32 s76, s46, s17
	s_mul_hi_u32 s77, s46, s15
	s_addc_u32 s65, s16, s11
	s_mul_i32 s53, s5, s8
	s_and_b32 s38, s64, 0x3ffffff
	s_lshl_b64 s[66:67], s[2:3], 10
	s_add_i32 s77, s77, s76
	s_lshr_b64 s[64:65], s[64:65], 26
	s_mul_hi_u32 s24, s5, s8
	s_add_u32 s2, s53, s49
	s_mul_i32 s82, s9, s30
	s_addc_u32 s11, s24, s40
	s_mul_hi_u32 s81, s9, s30
	s_add_u32 s2, s2, s82
	s_mul_i32 s80, s13, s43
	s_addc_u32 s11, s11, s81
	s_mul_hi_u32 s79, s13, s43
	s_add_u32 s2, s2, s80
	s_addc_u32 s11, s11, s79
	s_add_u32 s54, s2, s54
	s_addc_u32 s55, s11, s55
	s_mul_i32 s78, s46, s15
	s_and_b32 s2, s54, 0x3ffffff
	s_lshr_b64 s[54:55], s[54:55], 26
	s_add_u32 s20, s78, s23
	s_addc_u32 s22, s77, s22
	s_add_u32 s20, s20, s66
	s_mul_i32 s16, s2, 0x3d10
	s_addc_u32 s22, s22, s67
	s_mul_hi_u32 s11, s2, 0x3d10
	s_add_u32 s16, s20, s16
	s_addc_u32 s11, s22, s11
	s_add_u32 s64, s16, s64
	s_addc_u32 s65, s11, s65
	s_lshl_b64 s[66:67], s[2:3], 10
	s_and_b32 s2, s4, 0x3ffffff
	s_lshl_b32 s4, s10, 1
	s_mul_i32 s83, s45, s17
	s_mul_hi_u32 s84, s45, s15
	s_and_b32 s4, s4, 0x7fffffe
	s_mul_i32 s42, s15, s17
	s_mul_hi_u32 s44, s15, s15
	s_mul_i32 s25, s15, s15
	s_mul_hi_u32 s47, s5, s5
	s_mul_i32 s48, s5, s5
	s_mul_i32 s85, s45, s15
	s_mul_hi_u32 s15, s5, s46
	s_mul_i32 s17, s5, s46
	s_mul_hi_u32 s34, s5, s45
	s_mul_i32 s36, s5, s45
	s_mul_i32 s69, s9, s8
	s_and_b32 s40, s64, 0x3ffffff
	s_add_i32 s84, s84, s83
	s_lshr_b64 s[10:11], s[64:65], 26
	s_mul_hi_u32 s16, s2, s46
	s_mul_i32 s20, s2, s46
	s_mul_hi_u32 s22, s2, s45
	s_mul_i32 s23, s2, s45
	;; [unrolled: 2-line block ×5, first 2 shown]
	s_mul_hi_u32 s68, s9, s8
	s_mul_hi_u32 s24, s9, s4
	s_mul_i32 s72, s9, s4
	s_mul_hi_u32 s73, s13, s4
	s_mul_i32 s74, s13, s4
	s_add_u32 s4, s69, s5
	s_mul_i32 s87, s13, s30
	s_addc_u32 s2, s68, s2
	s_mul_hi_u32 s86, s13, s30
	s_add_u32 s4, s4, s87
	s_addc_u32 s2, s2, s86
	s_add_u32 s4, s4, s54
	s_addc_u32 s5, s2, s55
	s_and_b32 s2, s4, 0x3ffffff
	s_lshr_b64 s[54:55], s[4:5], 26
	s_add_u32 s20, s20, s85
	s_addc_u32 s16, s16, s84
	s_add_u32 s20, s20, s66
	s_mul_i32 s5, s2, 0x3d10
	s_addc_u32 s16, s16, s67
	s_mul_hi_u32 s4, s2, 0x3d10
	s_add_u32 s5, s20, s5
	s_addc_u32 s16, s16, s4
	s_add_u32 s4, s5, s10
	s_addc_u32 s5, s16, s11
	s_lshl_b64 s[10:11], s[2:3], 10
	s_and_b32 s2, s6, 0x3ffffff
	s_add_i32 s6, s44, s42
	s_mul_hi_u32 s30, s9, s46
	s_mul_i32 s31, s9, s46
	s_lshr_b64 s[64:65], s[4:5], 26
	s_mul_hi_u32 s16, s2, s46
	s_mul_i32 s20, s2, s46
	s_add_i32 s46, s6, s42
	s_mul_hi_u32 s66, s2, s45
	s_mul_i32 s67, s2, s45
	s_mul_hi_u32 s68, s2, s7
	s_mul_i32 s69, s2, s7
	;; [unrolled: 2-line block ×4, first 2 shown]
	s_add_u32 s2, s72, s48
	s_mul_hi_u32 s70, s13, s8
	s_mul_i32 s8, s13, s8
	s_addc_u32 s6, s24, s47
	s_add_u32 s2, s2, s8
	s_addc_u32 s7, s6, s70
	s_add_u32 s6, s2, s54
	s_addc_u32 s7, s7, s55
	s_and_b32 s2, s6, 0x3ffffff
	s_lshr_b64 s[44:45], s[6:7], 26
	s_add_u32 s8, s23, s25
	s_addc_u32 s22, s22, s46
	s_add_u32 s8, s8, s20
	s_addc_u32 s16, s22, s16
	s_add_u32 s8, s8, s10
	s_mul_i32 s7, s2, 0x3d10
	s_addc_u32 s10, s16, s11
	s_mul_hi_u32 s6, s2, 0x3d10
	s_add_u32 s7, s8, s7
	s_addc_u32 s8, s10, s6
	s_add_u32 s6, s7, s64
	s_addc_u32 s7, s8, s65
	s_lshl_b64 s[10:11], s[2:3], 10
	s_lshl_b32 s2, s12, 1
	s_and_b32 s2, s2, 0x7fffffe
	s_lshr_b64 s[24:25], s[6:7], 26
	s_mul_i32 s8, s2, s9
	s_mul_hi_u32 s7, s2, s9
	s_mul_hi_u32 s12, s13, s2
	s_mul_i32 s16, s13, s2
	s_add_u32 s2, s74, s8
	s_addc_u32 s7, s73, s7
	s_add_u32 s8, s2, s44
	s_mul_hi_u32 s51, s9, s9
	s_mul_i32 s52, s9, s9
	s_addc_u32 s9, s7, s45
	s_and_b32 s2, s8, 0x3ffffff
	s_lshr_b64 s[44:45], s[8:9], 26
	s_add_u32 s9, s67, s50
	s_addc_u32 s20, s66, s49
	s_add_u32 s9, s9, s63
	s_addc_u32 s20, s20, s62
	s_add_u32 s9, s9, s10
	s_mul_i32 s8, s2, 0x3d10
	s_addc_u32 s10, s20, s11
	s_mul_hi_u32 s7, s2, 0x3d10
	s_add_u32 s8, s9, s8
	s_addc_u32 s7, s10, s7
	s_add_u32 s8, s8, s24
	s_addc_u32 s9, s7, s25
	s_lshl_b64 s[10:11], s[2:3], 10
	s_lshr_b64 s[24:25], s[8:9], 26
	s_add_u32 s2, s16, s52
	s_addc_u32 s7, s12, s51
	s_add_u32 s44, s2, s44
	s_addc_u32 s45, s7, s45
	s_and_b32 s2, s44, 0x3ffffff
	s_lshr_b64 s[44:45], s[44:45], 26
	s_add_u32 s12, s69, s71
	s_addc_u32 s16, s68, s53
	s_add_u32 s12, s12, s61
	s_addc_u32 s16, s16, s60
	;; [unrolled: 2-line block ×3, first 2 shown]
	s_add_u32 s10, s12, s10
	s_mul_i32 s9, s2, 0x3d10
	s_addc_u32 s11, s16, s11
	s_mul_hi_u32 s7, s2, 0x3d10
	s_add_u32 s9, s10, s9
	s_addc_u32 s7, s11, s7
	s_add_u32 s10, s9, s24
	s_addc_u32 s11, s7, s25
	s_lshl_b64 s[46:47], s[2:3], 10
	s_lshl_b32 s2, s14, 1
	s_and_b32 s2, s2, 0x7fffffe
	s_lshr_b64 s[48:49], s[10:11], 26
	s_mul_hi_u32 s7, s2, s13
	s_mul_i32 s2, s2, s13
	s_add_u32 s12, s44, s2
	s_mul_hi_u32 s35, s13, s13
	s_mul_i32 s37, s13, s13
	s_addc_u32 s13, s45, s7
	s_and_b32 s2, s12, 0x3ffffff
	s_lshr_b64 s[24:25], s[12:13], 26
	s_add_u32 s11, s59, s43
	s_addc_u32 s12, s57, s75
	s_add_u32 s11, s11, s21
	s_addc_u32 s12, s12, s19
	;; [unrolled: 2-line block ×3, first 2 shown]
	s_add_u32 s11, s11, s46
	s_mul_i32 s9, s2, 0x3d10
	s_addc_u32 s12, s12, s47
	s_mul_hi_u32 s7, s2, 0x3d10
	s_add_u32 s9, s11, s9
	s_addc_u32 s7, s12, s7
	s_add_u32 s12, s9, s48
	s_addc_u32 s13, s7, s49
	s_lshl_b64 s[16:17], s[2:3], 10
	s_lshr_b64 s[14:15], s[12:13], 26
	s_add_u32 s24, s24, s37
	s_addc_u32 s25, s25, s35
	s_and_b32 s2, s24, 0x3ffffff
	s_lshr_b64 s[24:25], s[24:25], 26
	s_add_u32 s11, s41, s42
	s_addc_u32 s5, s39, s5
	s_add_u32 s11, s11, s27
	s_addc_u32 s5, s5, s26
	;; [unrolled: 2-line block ×4, first 2 shown]
	s_add_u32 s11, s11, s16
	s_mul_i32 s9, s2, 0x3d10
	s_addc_u32 s5, s5, s17
	s_mul_hi_u32 s7, s2, 0x3d10
	s_add_u32 s9, s11, s9
	s_addc_u32 s5, s5, s7
	s_add_u32 s14, s9, s14
	s_addc_u32 s15, s5, s15
	s_mul_i32 s19, s24, 0x3d10
	s_lshl_b64 s[16:17], s[2:3], 10
	s_lshr_b64 s[26:27], s[14:15], 26
	s_mul_hi_u32 s13, s24, 0x3d10
	s_add_u32 s2, s19, s29
	s_addc_u32 s5, s13, 0
	s_add_u32 s2, s2, s16
	s_addc_u32 s5, s5, s17
	;; [unrolled: 2-line block ×3, first 2 shown]
	s_lshl_b64 s[16:17], s[24:25], 14
	s_lshr_b64 s[24:25], s[26:27], 22
	s_add_u32 s16, s24, s16
	s_addc_u32 s17, s25, s17
	s_mul_hi_u32 s2, s16, 0x3d1
	s_mul_i32 s7, s17, 0x3d1
	s_mul_i32 s5, s16, 0x3d1
	s_add_i32 s2, s2, s7
	s_add_u32 s24, s5, s28
	s_addc_u32 s25, s2, 0
	s_lshl_b64 s[16:17], s[16:17], 6
	s_lshr_b64 s[28:29], s[24:25], 26
	s_add_u32 s2, s16, s38
	s_addc_u32 s5, s17, 0
	s_add_u32 s16, s2, s28
	s_addc_u32 s17, s5, s29
	s_lshr_b64 s[28:29], s[16:17], 26
	s_add_u32 s15, s28, s40
	s_addc_u32 s17, s29, 0
	s_add_i32 s18, s18, -1
	s_cmp_lg_u32 s18, 0
	s_cbranch_scc1 .LBB0_5
; %bb.6:
	s_and_b32 s29, s12, 0x3ffffff
	s_and_b32 s18, s24, 0x3ffffff
	s_mul_i32 s9, s17, s90
	s_mul_hi_u32 s11, s15, s90
	s_and_b32 s24, s4, 0x3ffffff
	s_and_b32 s25, s6, 0x3ffffff
	s_mul_i32 s12, s29, s1
	s_mul_hi_u32 s22, s29, s0
	s_and_b32 s16, s16, 0x3ffffff
	s_add_i32 s11, s11, s9
	s_mul_i32 s13, s24, s91
	s_mul_i32 s19, s25, s92
	s_and_b32 s28, s8, 0x3ffffff
	s_and_b32 s27, s10, 0x3ffffff
	s_add_i32 s22, s22, s12
	s_and_b32 s30, s14, 0x3ffffff
	s_and_b32 s26, s26, 0x3fffff
	s_mul_hi_u32 s4, s24, s91
	s_mul_hi_u32 s6, s25, s92
	s_add_u32 s13, s19, s13
	s_mul_i32 s20, s28, s93
	s_addc_u32 s4, s6, s4
	s_mul_hi_u32 s8, s28, s93
	s_add_u32 s6, s13, s20
	s_mul_i32 s21, s27, s94
	s_addc_u32 s4, s4, s8
	;; [unrolled: 4-line block ×3, first 2 shown]
	s_add_u32 s6, s6, s12
	s_mul_i32 s23, s30, s95
	s_addc_u32 s4, s4, s22
	s_mul_hi_u32 s14, s30, s95
	s_add_u32 s6, s6, s23
	s_mul_i32 s34, s26, vcc_lo
	s_addc_u32 s4, s4, s14
	s_mul_hi_u32 s31, s26, vcc_lo
	s_add_u32 s6, s6, s34
	s_mul_i32 s3, s18, s88
	s_addc_u32 s4, s4, s31
	s_mul_hi_u32 s2, s18, s88
	s_add_u32 s3, s6, s3
	s_mul_i32 s7, s16, s89
	s_addc_u32 s2, s4, s2
	s_mul_hi_u32 s5, s16, s89
	s_add_u32 s3, s3, s7
	s_mul_i32 s9, s15, s90
	s_addc_u32 s2, s2, s5
	s_add_u32 s4, s3, s9
	s_addc_u32 s5, s2, s11
	s_mul_i32 s9, s17, s89
	s_mul_hi_u32 s10, s15, s89
	s_mul_i32 s35, s30, s1
	s_mul_hi_u32 s36, s30, s0
	s_and_b32 s14, s4, 0x3ffffff
	s_lshr_b64 s[4:5], s[4:5], 26
	s_add_i32 s10, s10, s9
	s_mul_i32 s12, s24, s90
	s_mul_i32 s19, s25, s91
	s_add_i32 s36, s36, s35
	s_mul_hi_u32 s11, s24, s90
	s_mul_hi_u32 s13, s25, s91
	s_add_u32 s12, s19, s12
	s_mul_i32 s21, s28, s92
	s_addc_u32 s11, s13, s11
	s_mul_hi_u32 s20, s28, s92
	s_add_u32 s12, s12, s21
	s_mul_i32 s23, s27, s93
	s_addc_u32 s11, s11, s20
	;; [unrolled: 4-line block ×4, first 2 shown]
	s_add_u32 s12, s12, s35
	s_mul_i32 s38, s26, s95
	s_addc_u32 s11, s11, s36
	s_mul_hi_u32 s37, s26, s95
	s_add_u32 s12, s12, s38
	s_mul_i32 s8, s16, s88
	s_addc_u32 s11, s11, s37
	s_mul_hi_u32 s2, s16, s88
	s_add_u32 s8, s12, s8
	s_mul_i32 s9, s15, s89
	s_addc_u32 s2, s11, s2
	s_add_u32 s8, s8, s9
	s_addc_u32 s2, s2, s10
	s_add_u32 s4, s8, s4
	s_addc_u32 s5, s2, s5
	s_and_b32 s2, s4, 0x3ffffff
	s_mul_i32 s6, s18, vcc_lo
	s_lshr_b64 s[4:5], s[4:5], 26
	s_mul_i32 s9, s2, 0x3d10
	s_mov_b32 s3, 0
	s_mul_hi_u32 s7, s18, vcc_lo
	s_mul_hi_u32 s8, s2, 0x3d10
	s_add_u32 s6, s9, s6
	s_addc_u32 s7, s8, s7
	s_lshl_b64 s[8:9], s[2:3], 10
	s_mul_i32 s2, s17, s88
	s_mul_hi_u32 s19, s15, s88
	s_mul_i32 s42, s26, s1
	s_mul_hi_u32 s43, s26, s0
	s_and_b32 s31, s6, 0x3ffffff
	s_lshr_b64 s[6:7], s[6:7], 26
	s_add_i32 s19, s19, s2
	s_mul_i32 s21, s24, s89
	s_mul_i32 s23, s25, s90
	s_add_i32 s43, s43, s42
	s_mul_hi_u32 s20, s24, s89
	s_mul_hi_u32 s22, s25, s90
	s_add_u32 s21, s23, s21
	s_mul_i32 s35, s28, s91
	s_addc_u32 s20, s22, s20
	s_mul_hi_u32 s34, s28, s91
	s_add_u32 s21, s21, s35
	s_mul_i32 s37, s27, s92
	s_addc_u32 s20, s20, s34
	;; [unrolled: 4-line block ×5, first 2 shown]
	s_add_u32 s21, s21, s42
	s_mul_i32 s2, s15, s88
	s_addc_u32 s20, s20, s43
	s_add_u32 s2, s21, s2
	s_addc_u32 s19, s20, s19
	s_add_u32 s4, s2, s4
	s_addc_u32 s5, s19, s5
	s_mul_i32 s11, s18, s95
	s_mul_i32 s13, s16, vcc_lo
	s_and_b32 s2, s4, 0x3ffffff
	s_lshr_b64 s[4:5], s[4:5], 26
	s_mul_hi_u32 s10, s18, s95
	s_mul_hi_u32 s12, s16, vcc_lo
	s_add_u32 s11, s13, s11
	s_addc_u32 s10, s12, s10
	s_add_u32 s8, s11, s8
	s_addc_u32 s9, s10, s9
	s_add_u32 s6, s8, s6
	s_mul_i32 s20, s2, 0x3d10
	s_addc_u32 s7, s9, s7
	s_mul_hi_u32 s19, s2, 0x3d10
	s_add_u32 s6, s6, s20
	s_addc_u32 s7, s7, s19
	s_lshl_b64 s[8:9], s[2:3], 10
	s_mul_i32 s2, s18, s1
	s_mul_hi_u32 s10, s18, s0
	s_add_i32 s10, s10, s2
	s_mul_i32 s2, s17, vcc_lo
	s_mul_hi_u32 s19, s15, vcc_lo
	s_and_b32 s34, s6, 0x3ffffff
	s_lshr_b64 s[6:7], s[6:7], 26
	s_add_i32 s19, s19, s2
	s_mul_i32 s21, s24, s88
	s_mul_i32 s23, s25, s89
	s_mul_hi_u32 s2, s24, s88
	s_mul_hi_u32 s22, s25, s89
	s_add_u32 s21, s23, s21
	s_mul_i32 s36, s28, s90
	s_addc_u32 s2, s22, s2
	s_mul_hi_u32 s35, s28, s90
	s_add_u32 s21, s21, s36
	s_mul_i32 s38, s27, s91
	s_addc_u32 s2, s2, s35
	;; [unrolled: 4-line block ×5, first 2 shown]
	s_mul_hi_u32 s43, s26, s94
	s_add_u32 s21, s21, s44
	s_addc_u32 s2, s2, s43
	s_add_u32 s4, s21, s4
	s_addc_u32 s5, s2, s5
	s_mul_i32 s11, s18, s0
	s_mul_i32 s13, s16, s95
	s_and_b32 s2, s4, 0x3ffffff
	s_lshr_b64 s[4:5], s[4:5], 26
	s_mul_hi_u32 s12, s16, s95
	s_add_u32 s11, s13, s11
	s_mul_i32 s20, s15, vcc_lo
	s_addc_u32 s10, s12, s10
	s_add_u32 s11, s11, s20
	s_addc_u32 s10, s10, s19
	s_add_u32 s8, s11, s8
	s_mul_i32 s22, s2, 0x3d10
	s_addc_u32 s9, s10, s9
	s_mul_hi_u32 s21, s2, 0x3d10
	s_add_u32 s8, s8, s22
	s_addc_u32 s9, s9, s21
	s_add_u32 s6, s8, s6
	s_addc_u32 s7, s9, s7
	s_lshl_b64 s[8:9], s[2:3], 10
	s_mul_i32 s2, s16, s1
	s_mul_hi_u32 s10, s16, s0
	s_add_i32 s19, s10, s2
	s_mul_i32 s2, s17, s95
	s_mul_hi_u32 s10, s15, s95
	s_and_b32 s35, s6, 0x3ffffff
	s_lshr_b64 s[6:7], s[6:7], 26
	s_add_i32 s21, s10, s2
	s_mul_i32 s10, s25, s88
	s_mul_i32 s37, s28, s89
	s_mul_hi_u32 s2, s25, s88
	s_mul_hi_u32 s11, s28, s89
	s_add_u32 s10, s37, s10
	s_mul_i32 s39, s27, s90
	s_addc_u32 s2, s11, s2
	s_mul_hi_u32 s38, s27, s90
	s_add_u32 s10, s10, s39
	s_mul_i32 s41, s29, s91
	s_addc_u32 s2, s2, s38
	;; [unrolled: 4-line block ×4, first 2 shown]
	s_mul_hi_u32 s44, s26, s93
	s_add_u32 s10, s10, s45
	s_addc_u32 s2, s2, s44
	s_add_u32 s4, s10, s4
	s_addc_u32 s5, s2, s5
	s_mul_i32 s13, s18, s94
	s_mul_i32 s36, s24, vcc_lo
	s_and_b32 s2, s4, 0x3ffffff
	s_lshr_b64 s[10:11], s[4:5], 26
	s_mul_hi_u32 s12, s18, s94
	s_mul_hi_u32 s23, s24, vcc_lo
	s_add_u32 s13, s13, s36
	s_mul_i32 s20, s16, s0
	s_addc_u32 s12, s12, s23
	s_add_u32 s13, s13, s20
	s_mul_i32 s22, s15, s95
	s_addc_u32 s12, s12, s19
	s_add_u32 s13, s13, s22
	s_addc_u32 s12, s12, s21
	s_add_u32 s8, s13, s8
	s_mul_i32 s5, s2, 0x3d10
	s_addc_u32 s9, s12, s9
	s_mul_hi_u32 s4, s2, 0x3d10
	s_add_u32 s5, s8, s5
	s_addc_u32 s8, s9, s4
	s_add_u32 s4, s5, s6
	s_addc_u32 s5, s8, s7
	s_lshl_b64 s[8:9], s[2:3], 10
	s_mul_i32 s2, s15, s1
	s_mul_hi_u32 s20, s15, s0
	s_add_i32 s2, s20, s2
	s_mul_i32 s20, s17, s0
	s_lshr_b64 s[6:7], s[4:5], 26
	s_add_i32 s20, s2, s20
	s_mul_i32 s38, s28, s88
	s_mul_i32 s40, s27, s89
	s_mul_hi_u32 s2, s28, s88
	s_mul_hi_u32 s39, s27, s89
	s_add_u32 s38, s40, s38
	s_mul_i32 s42, s29, s90
	s_addc_u32 s2, s39, s2
	s_mul_hi_u32 s41, s29, s90
	s_add_u32 s38, s38, s42
	s_mul_i32 s44, s30, s91
	s_addc_u32 s2, s2, s41
	;; [unrolled: 4-line block ×3, first 2 shown]
	s_mul_hi_u32 s45, s26, s92
	s_add_u32 s38, s38, s46
	s_addc_u32 s2, s2, s45
	s_add_u32 s10, s38, s10
	s_addc_u32 s11, s2, s11
	s_mul_i32 s23, s24, s95
	s_mul_i32 s37, s25, vcc_lo
	s_and_b32 s2, s10, 0x3ffffff
	s_lshr_b64 s[10:11], s[10:11], 26
	s_mul_hi_u32 s22, s24, s95
	s_mul_hi_u32 s36, s25, vcc_lo
	s_add_u32 s23, s37, s23
	s_mul_i32 s12, s18, s93
	s_addc_u32 s22, s36, s22
	s_mul_hi_u32 s5, s18, s93
	s_add_u32 s12, s23, s12
	s_mul_i32 s19, s16, s94
	s_addc_u32 s5, s22, s5
	s_mul_hi_u32 s13, s16, s94
	s_add_u32 s12, s12, s19
	s_mul_i32 s21, s15, s0
	s_addc_u32 s5, s5, s13
	s_add_u32 s12, s12, s21
	s_addc_u32 s5, s5, s20
	s_add_u32 s8, s12, s8
	s_mul_i32 s39, s2, 0x3d10
	s_addc_u32 s5, s5, s9
	s_mul_hi_u32 s38, s2, 0x3d10
	s_add_u32 s8, s8, s39
	s_addc_u32 s5, s5, s38
	s_add_u32 s6, s8, s6
	s_addc_u32 s7, s5, s7
	s_lshl_b64 s[12:13], s[2:3], 10
	s_mul_i32 s2, s17, s94
	s_mul_hi_u32 s21, s15, s94
	s_add_i32 s21, s21, s2
	s_mul_i32 s2, s24, s1
	s_mul_hi_u32 s23, s24, s0
	s_lshr_b64 s[8:9], s[6:7], 26
	s_add_i32 s23, s23, s2
	s_mul_i32 s41, s27, s88
	s_mul_i32 s43, s29, s89
	s_mul_hi_u32 s2, s27, s88
	s_mul_hi_u32 s42, s29, s89
	s_add_u32 s41, s43, s41
	s_mul_i32 s45, s30, s90
	s_addc_u32 s2, s42, s2
	s_mul_hi_u32 s44, s30, s90
	s_add_u32 s41, s41, s45
	s_mul_i32 s47, s26, s91
	s_addc_u32 s2, s2, s44
	s_mul_hi_u32 s46, s26, s91
	s_add_u32 s41, s41, s47
	s_addc_u32 s2, s2, s46
	s_add_u32 s10, s41, s10
	s_addc_u32 s11, s2, s11
	s_mul_i32 s36, s24, s0
	s_mul_i32 s38, s25, s95
	s_and_b32 s2, s10, 0x3ffffff
	s_lshr_b64 s[10:11], s[10:11], 26
	s_mul_hi_u32 s37, s25, s95
	s_add_u32 s36, s38, s36
	s_mul_i32 s40, s28, vcc_lo
	s_addc_u32 s23, s37, s23
	s_mul_hi_u32 s39, s28, vcc_lo
	s_add_u32 s36, s36, s40
	s_mul_i32 s7, s18, s92
	s_addc_u32 s23, s23, s39
	s_mul_hi_u32 s5, s18, s92
	s_add_u32 s7, s36, s7
	s_mul_i32 s20, s16, s93
	s_addc_u32 s5, s23, s5
	s_mul_hi_u32 s19, s16, s93
	s_add_u32 s7, s7, s20
	s_mul_i32 s22, s15, s94
	s_addc_u32 s5, s5, s19
	s_add_u32 s7, s7, s22
	s_addc_u32 s5, s5, s21
	s_add_u32 s7, s7, s12
	s_mul_i32 s42, s2, 0x3d10
	s_addc_u32 s5, s5, s13
	s_mul_hi_u32 s41, s2, 0x3d10
	s_add_u32 s7, s7, s42
	s_addc_u32 s5, s5, s41
	s_add_u32 s8, s7, s8
	s_addc_u32 s9, s5, s9
	s_lshl_b64 s[36:37], s[2:3], 10
	s_mul_i32 s2, s17, s93
	s_mul_hi_u32 s20, s15, s93
	s_add_i32 s20, s20, s2
	s_mul_i32 s2, s25, s1
	s_mul_hi_u32 s38, s25, s0
	s_lshr_b64 s[12:13], s[8:9], 26
	s_add_i32 s40, s38, s2
	s_mul_i32 s38, s29, s88
	s_mul_i32 s46, s30, s89
	s_mul_hi_u32 s2, s29, s88
	s_mul_hi_u32 s39, s30, s89
	s_add_u32 s38, s46, s38
	s_mul_i32 s48, s26, s90
	s_addc_u32 s2, s39, s2
	s_mul_hi_u32 s47, s26, s90
	s_add_u32 s38, s38, s48
	s_addc_u32 s2, s2, s47
	s_add_u32 s10, s38, s10
	s_addc_u32 s11, s2, s11
	s_mul_i32 s23, s24, s94
	s_mul_i32 s41, s25, s0
	s_and_b32 s2, s10, 0x3ffffff
	s_lshr_b64 s[38:39], s[10:11], 26
	s_mul_hi_u32 s22, s24, s94
	s_add_u32 s23, s41, s23
	s_mul_i32 s43, s28, s95
	s_addc_u32 s22, s40, s22
	s_mul_hi_u32 s42, s28, s95
	s_add_u32 s23, s23, s43
	s_mul_i32 s45, s27, vcc_lo
	s_addc_u32 s22, s22, s42
	s_mul_hi_u32 s44, s27, vcc_lo
	s_add_u32 s23, s23, s45
	s_mul_i32 s7, s18, s91
	s_addc_u32 s22, s22, s44
	s_mul_hi_u32 s5, s18, s91
	s_add_u32 s7, s23, s7
	s_mul_i32 s19, s16, s92
	s_addc_u32 s5, s22, s5
	s_mul_hi_u32 s9, s16, s92
	s_add_u32 s7, s7, s19
	s_mul_i32 s21, s15, s93
	s_addc_u32 s5, s5, s9
	s_add_u32 s7, s7, s21
	s_addc_u32 s5, s5, s20
	s_add_u32 s7, s7, s36
	s_mul_i32 s11, s2, 0x3d10
	s_addc_u32 s5, s5, s37
	s_mul_hi_u32 s10, s2, 0x3d10
	s_add_u32 s7, s7, s11
	s_addc_u32 s5, s5, s10
	s_add_u32 s10, s7, s12
	s_addc_u32 s11, s5, s13
	s_lshl_b64 s[36:37], s[2:3], 10
	s_mul_i32 s2, s17, s92
	s_mul_hi_u32 s19, s15, s92
	s_add_i32 s19, s19, s2
	s_mul_i32 s2, s28, s1
	s_mul_hi_u32 s41, s28, s0
	s_lshr_b64 s[12:13], s[10:11], 26
	s_add_i32 s41, s41, s2
	s_mul_i32 s46, s30, s88
	s_mul_i32 s47, s26, s89
	s_mul_hi_u32 s2, s30, s88
	s_add_u32 s46, s47, s46
	s_mul_hi_u32 s47, s26, s89
	s_addc_u32 s2, s47, s2
	s_add_u32 s38, s46, s38
	s_addc_u32 s39, s2, s39
	s_mul_i32 s22, s24, s93
	s_mul_i32 s40, s25, s94
	s_and_b32 s2, s38, 0x3ffffff
	s_lshr_b64 s[38:39], s[38:39], 26
	s_mul_hi_u32 s21, s24, s93
	s_mul_hi_u32 s23, s25, s94
	s_add_u32 s22, s40, s22
	s_mul_i32 s42, s28, s0
	s_addc_u32 s21, s23, s21
	s_add_u32 s22, s22, s42
	s_mul_i32 s44, s27, s95
	s_addc_u32 s21, s21, s41
	s_mul_hi_u32 s43, s27, s95
	s_add_u32 s22, s22, s44
	s_mul_i32 s46, s29, vcc_lo
	s_addc_u32 s21, s21, s43
	s_mul_hi_u32 s45, s29, vcc_lo
	s_add_u32 s22, s22, s46
	s_mul_i32 s7, s18, s90
	s_addc_u32 s21, s21, s45
	s_mul_hi_u32 s5, s18, s90
	s_add_u32 s7, s22, s7
	s_mul_i32 s11, s16, s91
	s_addc_u32 s5, s21, s5
	s_mul_hi_u32 s9, s16, s91
	s_add_u32 s7, s7, s11
	s_mul_i32 s20, s15, s92
	s_addc_u32 s5, s5, s9
	s_add_u32 s7, s7, s20
	s_addc_u32 s5, s5, s19
	s_add_u32 s7, s7, s36
	s_mul_i32 s48, s2, 0x3d10
	s_addc_u32 s5, s5, s37
	s_mul_hi_u32 s47, s2, 0x3d10
	s_add_u32 s7, s7, s48
	s_addc_u32 s5, s5, s47
	s_add_u32 s12, s7, s12
	s_addc_u32 s13, s5, s13
	s_lshr_b64 s[36:37], s[12:13], 26
	s_lshl_b64 s[40:41], s[2:3], 10
	s_mul_i32 s2, s17, s91
	s_mul_hi_u32 s13, s15, s91
	s_mul_hi_u32 s9, s16, s90
	s_mul_i32 s11, s16, s90
	s_add_i32 s13, s13, s2
	s_mul_i32 s2, s27, s1
	s_mul_hi_u32 s16, s27, s0
	s_add_i32 s23, s16, s2
	s_mul_hi_u32 s2, s26, s88
	s_mul_i32 s26, s26, s88
	v_writelane_b32 v15, s89, 27
	s_add_u32 s16, s38, s26
	v_writelane_b32 v15, s90, 28
	s_addc_u32 s17, s39, s2
	s_mul_hi_u32 s5, s18, s89
	s_mul_i32 s7, s18, s89
	v_writelane_b32 v15, s91, 29
	s_mul_hi_u32 s20, s24, s92
	s_mul_i32 s24, s24, s92
	s_mul_hi_u32 s21, s25, s93
	s_mul_i32 s25, s25, s93
	s_and_b32 s2, s16, 0x3ffffff
	s_lshr_b64 s[18:19], s[16:17], 26
	v_writelane_b32 v15, s92, 30
	s_add_u32 s24, s25, s24
	v_writelane_b32 v15, s93, 31
	s_mul_hi_u32 s22, s28, s94
	s_mul_i32 s28, s28, s94
	s_addc_u32 s20, s21, s20
	v_writelane_b32 v15, s94, 32
	s_add_u32 s21, s24, s28
	v_writelane_b32 v15, s0, 33
	s_mul_i32 s27, s27, s0
	s_addc_u32 s20, s20, s22
	s_add_u32 s21, s21, s27
	s_mul_hi_u32 s42, s29, s95
	s_mul_i32 s29, s29, s95
	s_addc_u32 s20, s20, s23
	s_add_u32 s21, s21, s29
	s_mul_hi_u32 s43, s30, vcc_lo
	s_mul_i32 s30, s30, vcc_lo
	s_addc_u32 s20, s20, s42
	s_add_u32 s21, s21, s30
	s_addc_u32 s20, s20, s43
	s_add_u32 s7, s21, s7
	;; [unrolled: 2-line block ×3, first 2 shown]
	s_mul_i32 s15, s15, s91
	s_addc_u32 s5, s5, s9
	s_add_u32 s7, s7, s15
	s_addc_u32 s5, s5, s13
	s_add_u32 s7, s7, s40
	s_mul_i32 s17, s2, 0x3d10
	s_addc_u32 s5, s5, s41
	s_mul_hi_u32 s16, s2, 0x3d10
	s_add_u32 s7, s7, s17
	s_addc_u32 s5, s5, s16
	s_add_u32 s16, s7, s36
	s_addc_u32 s17, s5, s37
	s_lshr_b64 s[24:25], s[16:17], 26
	s_lshl_b64 s[26:27], s[2:3], 10
	s_mul_i32 s5, s18, 0x3d10
	s_mul_hi_u32 s2, s18, 0x3d10
	s_add_u32 s5, s5, s14
	s_addc_u32 s2, s2, 0
	s_add_u32 s5, s5, s26
	s_addc_u32 s2, s2, s27
	;; [unrolled: 2-line block ×3, first 2 shown]
	s_lshr_b64 s[14:15], s[28:29], 22
	s_lshl_b64 s[18:19], s[18:19], 14
	s_add_u32 s14, s14, s18
	s_addc_u32 s15, s15, s19
	s_mul_i32 s2, s15, 0x3d1
	s_mul_hi_u32 s5, s14, 0x3d1
	s_add_i32 s5, s5, s2
	s_mul_i32 s2, s14, 0x3d1
	s_add_u32 s26, s2, s31
	s_addc_u32 s27, s5, 0
	s_lshr_b64 s[18:19], s[26:27], 26
	s_lshl_b64 s[14:15], s[14:15], 6
	s_add_u32 s2, s14, s34
	s_addc_u32 s5, s15, 0
	s_add_u32 s24, s2, s18
	s_addc_u32 s25, s5, s19
	v_writelane_b32 v15, s1, 34
	s_lshr_b64 s[14:15], s[24:25], 26
	v_writelane_b32 v15, s95, 35
	s_add_u32 s7, s14, s35
	v_writelane_b32 v15, vcc_lo, 36
	s_addc_u32 s17, s15, 0
	s_mov_b64 s[14:15], -1
	v_writelane_b32 v15, s88, 37
.LBB0_7:                                ; =>This Inner Loop Header: Depth=1
	s_lshl_b32 s30, s4, 1
	s_lshl_b32 s34, s6, 1
	s_and_b32 s13, s28, 0x3fffff
	s_lshl_b32 s28, s26, 1
	s_lshl_b32 s29, s24, 1
	s_and_b32 s18, s10, 0x3ffffff
	s_and_b32 s2, s8, 0x3ffffff
	;; [unrolled: 1-line block ×5, first 2 shown]
	s_lshl_b32 s11, s7, 1
	s_and_b32 s5, s12, 0x3ffffff
	s_and_b32 s46, s28, 0x7fffffe
	;; [unrolled: 1-line block ×3, first 2 shown]
	s_mul_i32 s40, s18, s43
	s_mul_i32 s56, s34, s2
	s_mul_hi_u32 s36, s18, s43
	s_mul_hi_u32 s42, s34, s2
	s_add_u32 s40, s40, s56
	s_mul_i32 s35, s5, s11
	s_addc_u32 s36, s36, s42
	s_mul_hi_u32 s31, s5, s11
	s_add_u32 s40, s40, s35
	s_mul_i32 s39, s9, s45
	s_addc_u32 s31, s36, s31
	s_mul_hi_u32 s23, s9, s45
	s_add_u32 s66, s40, s39
	s_mul_i32 s22, s13, s46
	s_addc_u32 s23, s31, s23
	s_mul_hi_u32 s20, s13, s46
	s_add_u32 s66, s66, s22
	s_addc_u32 s67, s23, s20
	s_mul_hi_u32 s55, s2, s2
	s_mul_i32 s57, s2, s2
	s_mul_hi_u32 s59, s2, s11
	s_mul_i32 s60, s2, s11
	s_mul_i32 s73, s18, s34
	s_mul_hi_u32 s64, s2, s46
	s_mul_i32 s65, s2, s46
	s_mul_hi_u32 s62, s2, s45
	;; [unrolled: 2-line block ×3, first 2 shown]
	s_mul_i32 s42, s2, s43
	s_and_b32 s31, s66, 0x3fffffe
	s_and_b32 s2, s26, 0x3ffffff
	s_lshr_b64 s[66:67], s[66:67], 26
	s_mul_hi_u32 s72, s18, s34
	s_mul_hi_u32 s20, s2, s2
	s_mul_i32 s22, s2, s2
	s_add_u32 s2, s73, s57
	s_mul_i32 s71, s5, s43
	s_addc_u32 s23, s72, s55
	s_mul_hi_u32 s70, s5, s43
	s_add_u32 s2, s2, s71
	s_mul_i32 s54, s9, s11
	s_addc_u32 s23, s23, s70
	s_mul_hi_u32 s30, s9, s11
	;; [unrolled: 4-line block ×3, first 2 shown]
	s_add_u32 s2, s2, s69
	s_addc_u32 s23, s23, s68
	s_add_u32 s54, s2, s66
	s_addc_u32 s55, s23, s67
	s_and_b32 s2, s54, 0x3ffffff
	s_lshr_b64 s[54:55], s[54:55], 26
	s_mul_i32 s26, s2, 0x3d10
	s_mul_hi_u32 s23, s2, 0x3d10
	s_add_u32 s66, s26, s22
	s_addc_u32 s67, s23, s20
	s_lshl_b32 s8, s8, 1
	s_lshl_b64 s[68:69], s[2:3], 10
	s_and_b32 s2, s24, 0x3ffffff
	s_and_b32 s8, s8, 0x7fffffe
	s_mul_hi_u32 s41, s18, s18
	s_mul_i32 s49, s18, s18
	s_mul_hi_u32 s28, s18, s11
	s_mul_i32 s29, s18, s11
	s_mul_i32 s77, s5, s34
	s_mul_hi_u32 s58, s18, s46
	s_mul_i32 s61, s18, s46
	s_mul_hi_u32 s21, s18, s45
	s_mul_i32 s56, s18, s45
	s_and_b32 s30, s66, 0x3fffffd
	s_lshr_b64 s[66:67], s[66:67], 26
	s_mul_hi_u32 s20, s46, s2
	s_mul_i32 s22, s46, s2
	s_mul_hi_u32 s23, s2, s2
	s_mul_i32 s24, s2, s2
	s_mul_hi_u32 s2, s8, s18
	s_mul_i32 s18, s8, s18
	s_mul_hi_u32 s76, s5, s34
	s_add_u32 s18, s77, s18
	s_mul_i32 s75, s9, s43
	s_addc_u32 s2, s76, s2
	s_mul_hi_u32 s74, s9, s43
	s_add_u32 s18, s18, s75
	s_mul_i32 s51, s13, s11
	s_addc_u32 s2, s2, s74
	s_mul_hi_u32 s50, s13, s11
	s_add_u32 s18, s18, s51
	s_addc_u32 s2, s2, s50
	s_add_u32 s50, s18, s54
	s_addc_u32 s51, s2, s55
	s_and_b32 s2, s50, 0x3ffffff
	s_lshr_b64 s[50:51], s[50:51], 26
	s_add_u32 s22, s68, s22
	s_addc_u32 s20, s69, s20
	s_add_u32 s22, s22, s66
	s_mul_i32 s54, s2, 0x3d10
	s_addc_u32 s20, s20, s67
	s_mul_hi_u32 s18, s2, 0x3d10
	s_add_u32 s54, s22, s54
	s_mul_i32 s78, s46, s17
	s_mul_hi_u32 s79, s46, s7
	s_addc_u32 s55, s20, s18
	s_mul_i32 s57, s5, s8
	s_and_b32 s18, s54, 0x3ffffff
	s_lshl_b64 s[66:67], s[2:3], 10
	s_add_i32 s79, s79, s78
	s_lshr_b64 s[54:55], s[54:55], 26
	s_mul_hi_u32 s26, s5, s8
	s_add_u32 s2, s57, s49
	s_mul_i32 s84, s9, s34
	s_addc_u32 s20, s26, s41
	s_mul_hi_u32 s83, s9, s34
	s_add_u32 s2, s2, s84
	s_mul_i32 s82, s13, s43
	s_addc_u32 s20, s20, s83
	s_mul_hi_u32 s81, s13, s43
	s_add_u32 s2, s2, s82
	s_addc_u32 s20, s20, s81
	s_add_u32 s50, s2, s50
	s_addc_u32 s51, s20, s51
	s_mul_i32 s80, s46, s7
	s_and_b32 s2, s50, 0x3ffffff
	s_lshr_b64 s[50:51], s[50:51], 26
	s_add_u32 s24, s80, s24
	s_addc_u32 s23, s79, s23
	s_add_u32 s24, s24, s66
	s_mul_i32 s22, s2, 0x3d10
	s_addc_u32 s23, s23, s67
	s_mul_hi_u32 s20, s2, 0x3d10
	s_add_u32 s22, s24, s22
	s_addc_u32 s20, s23, s20
	s_add_u32 s54, s22, s54
	s_addc_u32 s55, s20, s55
	s_lshl_b64 s[66:67], s[2:3], 10
	s_and_b32 s2, s4, 0x3ffffff
	s_lshl_b32 s4, s10, 1
	s_mul_i32 s85, s45, s17
	s_mul_hi_u32 s86, s45, s7
	s_and_b32 s4, s4, 0x7fffffe
	s_mul_i32 s27, s7, s17
	s_mul_hi_u32 s47, s5, s5
	s_mul_i32 s48, s5, s5
	s_mul_hi_u32 s17, s5, s46
	;; [unrolled: 2-line block ×3, first 2 shown]
	s_mul_i32 s39, s5, s45
	s_mul_i32 s71, s9, s8
	s_and_b32 s41, s54, 0x3ffffff
	s_add_i32 s86, s86, s85
	s_lshr_b64 s[54:55], s[54:55], 26
	s_mul_hi_u32 s10, s2, s46
	s_mul_i32 s20, s2, s46
	s_mul_hi_u32 s22, s2, s45
	s_mul_i32 s23, s2, s45
	;; [unrolled: 2-line block ×5, first 2 shown]
	s_mul_hi_u32 s70, s9, s8
	s_mul_hi_u32 s24, s9, s4
	s_mul_i32 s26, s9, s4
	s_mul_hi_u32 s73, s13, s4
	s_mul_i32 s74, s13, s4
	s_add_u32 s4, s71, s5
	s_mul_i32 s88, s13, s34
	s_addc_u32 s2, s70, s2
	s_mul_hi_u32 s87, s13, s34
	s_add_u32 s4, s4, s88
	s_addc_u32 s2, s2, s87
	s_add_u32 s4, s4, s50
	s_addc_u32 s5, s2, s51
	s_mul_hi_u32 s44, s7, s7
	s_mul_i32 s25, s7, s7
	s_mul_i32 s7, s45, s7
	s_and_b32 s2, s4, 0x3ffffff
	s_lshr_b64 s[50:51], s[4:5], 26
	s_add_u32 s7, s20, s7
	s_addc_u32 s10, s10, s86
	s_add_u32 s7, s7, s66
	s_mul_i32 s5, s2, 0x3d10
	s_addc_u32 s10, s10, s67
	s_mul_hi_u32 s4, s2, 0x3d10
	s_add_u32 s5, s7, s5
	s_addc_u32 s7, s10, s4
	s_add_u32 s4, s5, s54
	s_addc_u32 s5, s7, s55
	s_add_i32 s10, s44, s27
	s_lshl_b64 s[54:55], s[2:3], 10
	s_and_b32 s2, s6, 0x3ffffff
	s_lshr_b64 s[6:7], s[4:5], 26
	s_add_i32 s27, s10, s27
	s_mul_hi_u32 s34, s9, s46
	s_mul_i32 s35, s9, s46
	s_mul_hi_u32 s20, s2, s46
	s_mul_i32 s44, s2, s46
	;; [unrolled: 2-line block ×6, first 2 shown]
	s_add_u32 s2, s26, s48
	s_mul_hi_u32 s72, s13, s8
	s_mul_i32 s8, s13, s8
	s_addc_u32 s10, s24, s47
	s_add_u32 s2, s2, s8
	s_addc_u32 s8, s10, s72
	s_add_u32 s10, s2, s50
	s_addc_u32 s11, s8, s51
	s_and_b32 s2, s10, 0x3ffffff
	s_lshr_b64 s[10:11], s[10:11], 26
	s_add_u32 s23, s23, s25
	s_addc_u32 s22, s22, s27
	s_add_u32 s23, s23, s44
	s_addc_u32 s20, s22, s20
	s_add_u32 s22, s23, s54
	s_mul_i32 s24, s2, 0x3d10
	s_addc_u32 s20, s20, s55
	s_mul_hi_u32 s8, s2, 0x3d10
	s_add_u32 s22, s22, s24
	s_addc_u32 s8, s20, s8
	s_add_u32 s6, s22, s6
	s_addc_u32 s7, s8, s7
	s_lshl_b64 s[24:25], s[2:3], 10
	s_lshl_b32 s2, s12, 1
	s_and_b32 s2, s2, 0x7fffffe
	s_lshr_b64 s[26:27], s[6:7], 26
	s_mul_i32 s8, s2, s9
	s_mul_hi_u32 s7, s2, s9
	s_mul_hi_u32 s12, s13, s2
	s_mul_i32 s20, s13, s2
	s_add_u32 s2, s74, s8
	s_addc_u32 s7, s73, s7
	s_add_u32 s8, s2, s10
	s_mul_hi_u32 s52, s9, s9
	s_mul_i32 s53, s9, s9
	s_addc_u32 s9, s7, s11
	s_and_b32 s2, s8, 0x3ffffff
	s_lshr_b64 s[10:11], s[8:9], 26
	s_add_u32 s9, s45, s57
	s_addc_u32 s22, s46, s49
	s_add_u32 s9, s9, s65
	s_addc_u32 s22, s22, s64
	s_add_u32 s9, s9, s24
	s_mul_i32 s8, s2, 0x3d10
	s_addc_u32 s22, s22, s25
	s_mul_hi_u32 s7, s2, 0x3d10
	s_add_u32 s8, s9, s8
	s_addc_u32 s7, s22, s7
	s_add_u32 s8, s8, s26
	s_addc_u32 s9, s7, s27
	s_lshl_b64 s[24:25], s[2:3], 10
	s_lshr_b64 s[26:27], s[8:9], 26
	s_add_u32 s2, s20, s53
	s_addc_u32 s7, s12, s52
	s_add_u32 s10, s2, s10
	s_addc_u32 s11, s7, s11
	s_and_b32 s2, s10, 0x3ffffff
	s_lshr_b64 s[44:45], s[10:11], 26
	s_add_u32 s10, s67, s69
	s_addc_u32 s11, s66, s68
	s_add_u32 s10, s10, s63
	s_addc_u32 s11, s11, s62
	;; [unrolled: 2-line block ×3, first 2 shown]
	s_add_u32 s10, s10, s24
	s_mul_i32 s9, s2, 0x3d10
	s_addc_u32 s11, s11, s25
	s_mul_hi_u32 s7, s2, 0x3d10
	s_add_u32 s9, s10, s9
	s_addc_u32 s7, s11, s7
	s_add_u32 s10, s9, s26
	s_addc_u32 s11, s7, s27
	s_lshl_b64 s[24:25], s[2:3], 10
	s_lshl_b32 s2, s16, 1
	s_and_b32 s2, s2, 0x7fffffe
	s_lshr_b64 s[46:47], s[10:11], 26
	s_mul_hi_u32 s7, s2, s13
	s_mul_i32 s2, s2, s13
	s_add_u32 s12, s44, s2
	s_mul_hi_u32 s37, s13, s13
	s_mul_i32 s38, s13, s13
	s_addc_u32 s13, s45, s7
	s_and_b32 s2, s12, 0x3ffffff
	s_lshr_b64 s[26:27], s[12:13], 26
	s_add_u32 s11, s60, s71
	s_addc_u32 s12, s59, s70
	s_add_u32 s11, s11, s56
	s_addc_u32 s12, s12, s21
	;; [unrolled: 2-line block ×3, first 2 shown]
	s_add_u32 s11, s11, s24
	s_mul_i32 s9, s2, 0x3d10
	s_addc_u32 s12, s12, s25
	s_mul_hi_u32 s7, s2, 0x3d10
	s_add_u32 s9, s11, s9
	s_addc_u32 s7, s12, s7
	s_add_u32 s12, s9, s46
	s_addc_u32 s13, s7, s47
	s_lshl_b64 s[24:25], s[2:3], 10
	s_lshr_b64 s[16:17], s[12:13], 26
	s_add_u32 s26, s26, s38
	s_addc_u32 s27, s27, s37
	s_and_b32 s2, s26, 0x3ffffff
	s_lshr_b64 s[26:27], s[26:27], 26
	s_add_u32 s11, s42, s43
	s_addc_u32 s5, s40, s5
	s_add_u32 s11, s11, s29
	s_addc_u32 s5, s5, s28
	;; [unrolled: 2-line block ×4, first 2 shown]
	s_add_u32 s11, s11, s24
	s_mul_i32 s9, s2, 0x3d10
	s_addc_u32 s5, s5, s25
	s_mul_hi_u32 s7, s2, 0x3d10
	s_add_u32 s9, s11, s9
	s_addc_u32 s5, s5, s7
	s_add_u32 s16, s9, s16
	s_addc_u32 s17, s5, s17
	s_mul_i32 s19, s26, 0x3d10
	s_lshl_b64 s[24:25], s[2:3], 10
	s_lshr_b64 s[28:29], s[16:17], 26
	s_mul_hi_u32 s13, s26, 0x3d10
	s_add_u32 s2, s19, s31
	s_addc_u32 s5, s13, 0
	s_add_u32 s2, s2, s24
	s_addc_u32 s5, s5, s25
	;; [unrolled: 2-line block ×3, first 2 shown]
	s_lshl_b64 s[24:25], s[26:27], 14
	s_lshr_b64 s[26:27], s[28:29], 22
	s_add_u32 s24, s26, s24
	s_addc_u32 s25, s27, s25
	s_mul_hi_u32 s2, s24, 0x3d1
	s_mul_i32 s7, s25, 0x3d1
	s_mul_i32 s5, s24, 0x3d1
	s_add_i32 s2, s2, s7
	s_add_u32 s26, s5, s30
	s_addc_u32 s27, s2, 0
	s_lshl_b64 s[24:25], s[24:25], 6
	s_lshr_b64 s[30:31], s[26:27], 26
	s_add_u32 s2, s24, s18
	s_addc_u32 s5, s25, 0
	s_add_u32 s24, s2, s30
	s_addc_u32 s25, s5, s31
	s_lshr_b64 s[18:19], s[24:25], 26
	s_add_u32 s7, s18, s41
	s_addc_u32 s17, s19, 0
	s_and_b64 vcc, exec, s[14:15]
	s_mov_b64 s[14:15], 0
	s_cbranch_vccnz .LBB0_7
; %bb.8:
	v_readlane_b32 s55, v15, 10
	s_and_b32 s30, s12, 0x3ffffff
	v_readlane_b32 s53, v15, 6
	v_readlane_b32 s1, v15, 7
	s_and_b32 s18, s26, 0x3ffffff
	s_mul_i32 s11, s17, s55
	s_mul_hi_u32 s13, s7, s55
	s_and_b32 s25, s4, 0x3ffffff
	v_readlane_b32 s56, v15, 11
	s_and_b32 s26, s6, 0x3ffffff
	v_readlane_b32 s57, v15, 12
	s_mul_i32 s12, s30, s53
	s_mul_hi_u32 s21, s30, s1
	s_and_b32 s24, s24, 0x3ffffff
	s_add_i32 s13, s13, s11
	s_mul_i32 s14, s25, s56
	s_mul_i32 s15, s26, s57
	s_and_b32 s29, s8, 0x3ffffff
	s_and_b32 s27, s10, 0x3ffffff
	s_add_i32 s21, s21, s12
	s_and_b32 s16, s16, 0x3ffffff
	s_and_b32 s28, s28, 0x3fffff
	s_mul_hi_u32 s4, s25, s56
	s_mul_hi_u32 s6, s26, s57
	v_readlane_b32 s61, v15, 13
	s_add_u32 s14, s15, s14
	s_mul_i32 s19, s29, s61
	s_addc_u32 s4, s6, s4
	s_mul_hi_u32 s8, s29, s61
	v_readlane_b32 s60, v15, 8
	s_add_u32 s6, s14, s19
	s_mul_i32 s20, s27, s60
	s_addc_u32 s4, s4, s8
	s_mul_hi_u32 s10, s27, s60
	s_add_u32 s6, s6, s20
	s_mul_i32 s12, s30, s1
	s_addc_u32 s4, s4, s10
	v_readlane_b32 s59, v15, 5
	s_add_u32 s6, s6, s12
	s_mul_i32 s23, s16, s59
	s_addc_u32 s4, s4, s21
	s_mul_hi_u32 s22, s16, s59
	v_readlane_b32 s58, v15, 4
	s_add_u32 s6, s6, s23
	s_mul_i32 s34, s28, s58
	s_addc_u32 s4, s4, s22
	v_readlane_b32 s0, v15, 14
	s_mul_hi_u32 s31, s28, s58
	s_add_u32 s6, s6, s34
	s_mul_i32 s3, s18, s0
	s_addc_u32 s4, s4, s31
	s_mul_hi_u32 s2, s18, s0
	v_readlane_b32 s54, v15, 9
	s_add_u32 s3, s6, s3
	s_mul_i32 s9, s24, s54
	s_addc_u32 s2, s4, s2
	s_mul_hi_u32 s5, s24, s54
	s_add_u32 s3, s3, s9
	s_mul_i32 s11, s7, s55
	s_addc_u32 s2, s2, s5
	s_add_u32 s4, s3, s11
	s_addc_u32 s5, s2, s13
	s_mul_i32 s11, s17, s54
	s_mul_hi_u32 s12, s7, s54
	s_mul_i32 s35, s16, s53
	s_mul_hi_u32 s36, s16, s1
	s_and_b32 s6, s4, 0x3ffffff
	s_lshr_b64 s[4:5], s[4:5], 26
	s_add_i32 s12, s12, s11
	s_mul_i32 s14, s25, s55
	s_mul_i32 s19, s26, s56
	s_add_i32 s36, s36, s35
	s_mul_hi_u32 s13, s25, s55
	s_mul_hi_u32 s15, s26, s56
	s_add_u32 s14, s19, s14
	s_mul_i32 s21, s29, s57
	s_addc_u32 s13, s15, s13
	s_mul_hi_u32 s20, s29, s57
	s_add_u32 s14, s14, s21
	s_mul_i32 s23, s27, s61
	s_addc_u32 s13, s13, s20
	;; [unrolled: 4-line block ×4, first 2 shown]
	s_add_u32 s14, s14, s35
	s_mul_i32 s38, s28, s59
	s_addc_u32 s13, s13, s36
	s_mul_hi_u32 s37, s28, s59
	s_add_u32 s14, s14, s38
	s_mul_i32 s10, s24, s0
	s_addc_u32 s13, s13, s37
	s_mul_hi_u32 s2, s24, s0
	s_add_u32 s10, s14, s10
	s_mul_i32 s11, s7, s54
	s_addc_u32 s2, s13, s2
	s_add_u32 s10, s10, s11
	s_addc_u32 s2, s2, s12
	s_add_u32 s4, s10, s4
	s_addc_u32 s5, s2, s5
	s_and_b32 s2, s4, 0x3ffffff
	s_mul_i32 s8, s18, s58
	s_lshr_b64 s[4:5], s[4:5], 26
	s_mul_i32 s11, s2, 0x3d10
	s_mov_b32 s3, 0
	s_mul_hi_u32 s9, s18, s58
	s_mul_hi_u32 s10, s2, 0x3d10
	s_add_u32 s8, s11, s8
	s_addc_u32 s9, s10, s9
	s_lshl_b64 s[10:11], s[2:3], 10
	s_mul_i32 s2, s17, s0
	s_mul_hi_u32 s19, s7, s0
	s_mul_i32 s42, s28, s53
	s_mul_hi_u32 s43, s28, s1
	s_and_b32 s31, s8, 0x3ffffff
	s_lshr_b64 s[8:9], s[8:9], 26
	s_add_i32 s19, s19, s2
	s_mul_i32 s21, s25, s54
	s_mul_i32 s23, s26, s55
	s_add_i32 s43, s43, s42
	s_mul_hi_u32 s20, s25, s54
	s_mul_hi_u32 s22, s26, s55
	s_add_u32 s21, s23, s21
	s_mul_i32 s35, s29, s56
	s_addc_u32 s20, s22, s20
	s_mul_hi_u32 s34, s29, s56
	s_add_u32 s21, s21, s35
	s_mul_i32 s37, s27, s57
	s_addc_u32 s20, s20, s34
	;; [unrolled: 4-line block ×5, first 2 shown]
	s_add_u32 s21, s21, s42
	s_mul_i32 s2, s7, s0
	s_addc_u32 s20, s20, s43
	s_add_u32 s2, s21, s2
	s_addc_u32 s19, s20, s19
	s_add_u32 s4, s2, s4
	s_addc_u32 s5, s19, s5
	s_mul_i32 s13, s18, s59
	s_mul_i32 s15, s24, s58
	s_and_b32 s2, s4, 0x3ffffff
	s_lshr_b64 s[4:5], s[4:5], 26
	s_mul_hi_u32 s12, s18, s59
	s_mul_hi_u32 s14, s24, s58
	s_add_u32 s13, s15, s13
	s_addc_u32 s12, s14, s12
	s_add_u32 s10, s13, s10
	s_addc_u32 s11, s12, s11
	s_add_u32 s8, s10, s8
	s_mul_i32 s20, s2, 0x3d10
	s_addc_u32 s9, s11, s9
	s_mul_hi_u32 s19, s2, 0x3d10
	s_add_u32 s8, s8, s20
	s_addc_u32 s9, s9, s19
	s_lshl_b64 s[10:11], s[2:3], 10
	s_mul_i32 s2, s18, s53
	s_mul_hi_u32 s12, s18, s1
	s_add_i32 s12, s12, s2
	s_mul_i32 s2, s17, s58
	s_mul_hi_u32 s19, s7, s58
	s_and_b32 s34, s8, 0x3ffffff
	s_lshr_b64 s[8:9], s[8:9], 26
	s_add_i32 s19, s19, s2
	s_mul_i32 s21, s25, s0
	s_mul_i32 s23, s26, s54
	s_mul_hi_u32 s2, s25, s0
	s_mul_hi_u32 s22, s26, s54
	s_add_u32 s21, s23, s21
	s_mul_i32 s36, s29, s55
	s_addc_u32 s2, s22, s2
	s_mul_hi_u32 s35, s29, s55
	s_add_u32 s21, s21, s36
	s_mul_i32 s38, s27, s56
	s_addc_u32 s2, s2, s35
	;; [unrolled: 4-line block ×5, first 2 shown]
	s_mul_hi_u32 s43, s28, s60
	s_add_u32 s21, s21, s44
	s_addc_u32 s2, s2, s43
	s_add_u32 s4, s21, s4
	s_addc_u32 s5, s2, s5
	s_mul_i32 s13, s18, s1
	s_mul_i32 s15, s24, s59
	s_and_b32 s2, s4, 0x3ffffff
	s_lshr_b64 s[4:5], s[4:5], 26
	s_mul_hi_u32 s14, s24, s59
	s_add_u32 s13, s15, s13
	s_mul_i32 s20, s7, s58
	s_addc_u32 s12, s14, s12
	s_add_u32 s13, s13, s20
	s_addc_u32 s12, s12, s19
	s_add_u32 s10, s13, s10
	s_mul_i32 s22, s2, 0x3d10
	s_addc_u32 s11, s12, s11
	s_mul_hi_u32 s21, s2, 0x3d10
	s_add_u32 s10, s10, s22
	s_addc_u32 s11, s11, s21
	s_add_u32 s8, s10, s8
	s_addc_u32 s9, s11, s9
	s_lshl_b64 s[10:11], s[2:3], 10
	s_mul_i32 s2, s24, s53
	s_mul_hi_u32 s12, s24, s1
	s_add_i32 s19, s12, s2
	s_mul_i32 s2, s17, s59
	s_mul_hi_u32 s12, s7, s59
	s_and_b32 s35, s8, 0x3ffffff
	s_lshr_b64 s[8:9], s[8:9], 26
	s_add_i32 s21, s12, s2
	s_mul_i32 s12, s26, s0
	s_mul_i32 s37, s29, s54
	s_mul_hi_u32 s2, s26, s0
	s_mul_hi_u32 s13, s29, s54
	s_add_u32 s12, s37, s12
	s_mul_i32 s39, s27, s55
	s_addc_u32 s2, s13, s2
	s_mul_hi_u32 s38, s27, s55
	s_add_u32 s12, s12, s39
	s_mul_i32 s41, s30, s56
	s_addc_u32 s2, s2, s38
	;; [unrolled: 4-line block ×4, first 2 shown]
	s_mul_hi_u32 s44, s28, s61
	s_add_u32 s12, s12, s45
	s_addc_u32 s2, s2, s44
	s_add_u32 s4, s12, s4
	s_addc_u32 s5, s2, s5
	s_mul_i32 s15, s18, s60
	s_mul_i32 s36, s25, s58
	s_and_b32 s2, s4, 0x3ffffff
	s_lshr_b64 s[12:13], s[4:5], 26
	s_mul_hi_u32 s14, s18, s60
	s_mul_hi_u32 s23, s25, s58
	s_add_u32 s15, s15, s36
	s_mul_i32 s20, s24, s1
	s_addc_u32 s14, s14, s23
	s_add_u32 s15, s15, s20
	s_mul_i32 s22, s7, s59
	s_addc_u32 s14, s14, s19
	s_add_u32 s15, s15, s22
	s_addc_u32 s14, s14, s21
	s_add_u32 s10, s15, s10
	s_mul_i32 s5, s2, 0x3d10
	s_addc_u32 s11, s14, s11
	s_mul_hi_u32 s4, s2, 0x3d10
	s_add_u32 s5, s10, s5
	s_addc_u32 s10, s11, s4
	s_add_u32 s4, s5, s8
	s_addc_u32 s5, s10, s9
	s_lshl_b64 s[10:11], s[2:3], 10
	s_mul_i32 s2, s7, s53
	s_mul_hi_u32 s21, s7, s1
	s_add_i32 s2, s21, s2
	s_mul_i32 s21, s17, s1
	s_lshr_b64 s[8:9], s[4:5], 26
	s_add_i32 s21, s2, s21
	s_mul_i32 s39, s29, s0
	s_mul_i32 s41, s27, s54
	s_mul_hi_u32 s2, s29, s0
	s_mul_hi_u32 s40, s27, s54
	s_add_u32 s39, s41, s39
	s_mul_i32 s43, s30, s55
	s_addc_u32 s2, s40, s2
	s_mul_hi_u32 s42, s30, s55
	s_add_u32 s39, s39, s43
	s_mul_i32 s45, s16, s56
	s_addc_u32 s2, s2, s42
	;; [unrolled: 4-line block ×3, first 2 shown]
	s_mul_hi_u32 s46, s28, s57
	s_add_u32 s39, s39, s47
	s_addc_u32 s2, s2, s46
	s_add_u32 s12, s39, s12
	s_addc_u32 s13, s2, s13
	s_mul_i32 s36, s25, s59
	s_mul_i32 s38, s26, s58
	s_and_b32 s2, s12, 0x3ffffff
	s_lshr_b64 s[12:13], s[12:13], 26
	s_mul_hi_u32 s23, s25, s59
	s_mul_hi_u32 s37, s26, s58
	s_add_u32 s36, s38, s36
	s_mul_i32 s15, s18, s61
	s_addc_u32 s23, s37, s23
	s_mul_hi_u32 s14, s18, s61
	s_add_u32 s15, s36, s15
	s_mul_i32 s20, s24, s60
	s_addc_u32 s14, s23, s14
	;; [unrolled: 4-line block ×3, first 2 shown]
	s_add_u32 s15, s15, s22
	s_addc_u32 s14, s14, s21
	s_add_u32 s10, s15, s10
	s_mul_i32 s40, s2, 0x3d10
	s_addc_u32 s11, s14, s11
	s_mul_hi_u32 s39, s2, 0x3d10
	s_add_u32 s10, s10, s40
	s_addc_u32 s11, s11, s39
	s_add_u32 s8, s10, s8
	s_addc_u32 s9, s11, s9
	s_lshl_b64 s[14:15], s[2:3], 10
	s_mul_i32 s2, s17, s60
	s_mul_hi_u32 s23, s7, s60
	s_add_i32 s23, s23, s2
	s_mul_i32 s2, s25, s53
	s_mul_hi_u32 s37, s25, s1
	s_lshr_b64 s[10:11], s[8:9], 26
	s_add_i32 s37, s37, s2
	s_mul_i32 s43, s27, s0
	s_mul_i32 s45, s30, s54
	s_mul_hi_u32 s2, s27, s0
	s_mul_hi_u32 s44, s30, s54
	s_add_u32 s43, s45, s43
	s_mul_i32 s47, s16, s55
	s_addc_u32 s2, s44, s2
	s_mul_hi_u32 s46, s16, s55
	s_add_u32 s43, s43, s47
	s_mul_i32 s49, s28, s56
	s_addc_u32 s2, s2, s46
	s_mul_hi_u32 s48, s28, s56
	s_add_u32 s43, s43, s49
	s_addc_u32 s2, s2, s48
	s_add_u32 s12, s43, s12
	s_addc_u32 s13, s2, s13
	s_mul_i32 s38, s25, s1
	s_mul_i32 s40, s26, s59
	s_and_b32 s2, s12, 0x3ffffff
	s_lshr_b64 s[12:13], s[12:13], 26
	s_mul_hi_u32 s39, s26, s59
	s_add_u32 s38, s40, s38
	s_mul_i32 s42, s29, s58
	s_addc_u32 s37, s39, s37
	s_mul_hi_u32 s41, s29, s58
	s_add_u32 s38, s38, s42
	s_mul_i32 s20, s18, s57
	s_addc_u32 s37, s37, s41
	;; [unrolled: 4-line block ×4, first 2 shown]
	s_add_u32 s20, s20, s36
	s_addc_u32 s19, s19, s23
	s_add_u32 s14, s20, s14
	s_mul_i32 s44, s2, 0x3d10
	s_addc_u32 s15, s19, s15
	s_mul_hi_u32 s43, s2, 0x3d10
	s_add_u32 s14, s14, s44
	s_addc_u32 s15, s15, s43
	s_add_u32 s10, s14, s10
	s_addc_u32 s11, s15, s11
	s_lshl_b64 s[36:37], s[2:3], 10
	s_mul_i32 s2, s17, s61
	s_mul_hi_u32 s23, s7, s61
	s_add_i32 s23, s23, s2
	s_mul_i32 s2, s26, s53
	s_mul_hi_u32 s38, s26, s1
	s_lshr_b64 s[14:15], s[10:11], 26
	s_add_i32 s43, s38, s2
	s_mul_i32 s38, s30, s0
	s_mul_i32 s49, s16, s54
	s_mul_hi_u32 s2, s30, s0
	s_mul_hi_u32 s39, s16, s54
	s_add_u32 s38, s49, s38
	s_mul_i32 s51, s28, s55
	s_addc_u32 s2, s39, s2
	s_mul_hi_u32 s50, s28, s55
	s_add_u32 s38, s38, s51
	s_addc_u32 s2, s2, s50
	s_add_u32 s12, s38, s12
	s_addc_u32 s13, s2, s13
	s_mul_i32 s42, s25, s60
	s_mul_i32 s44, s26, s1
	s_and_b32 s2, s12, 0x3ffffff
	s_lshr_b64 s[38:39], s[12:13], 26
	s_mul_hi_u32 s41, s25, s60
	s_add_u32 s42, s44, s42
	s_mul_i32 s46, s29, s59
	s_addc_u32 s41, s43, s41
	s_mul_hi_u32 s45, s29, s59
	s_add_u32 s42, s42, s46
	s_mul_i32 s48, s27, s58
	s_addc_u32 s41, s41, s45
	;; [unrolled: 4-line block ×5, first 2 shown]
	s_add_u32 s20, s20, s40
	s_addc_u32 s19, s19, s23
	s_add_u32 s20, s20, s36
	s_mul_i32 s13, s2, 0x3d10
	s_addc_u32 s19, s19, s37
	s_mul_hi_u32 s12, s2, 0x3d10
	s_add_u32 s13, s20, s13
	s_addc_u32 s19, s19, s12
	s_add_u32 s12, s13, s14
	s_addc_u32 s13, s19, s15
	s_lshl_b64 s[36:37], s[2:3], 10
	s_mul_i32 s2, s17, s57
	s_mul_hi_u32 s23, s7, s57
	s_add_i32 s23, s23, s2
	s_mul_i32 s2, s29, s53
	s_mul_hi_u32 s45, s29, s1
	s_lshr_b64 s[14:15], s[12:13], 26
	s_add_i32 s45, s45, s2
	s_mul_i32 s50, s16, s0
	s_mul_i32 s51, s28, s54
	s_mul_hi_u32 s2, s16, s0
	s_add_u32 s50, s51, s50
	s_mul_hi_u32 s51, s28, s54
	s_addc_u32 s2, s51, s2
	s_add_u32 s38, s50, s38
	s_addc_u32 s39, s2, s39
	s_mul_i32 s42, s25, s61
	s_mul_i32 s44, s26, s60
	s_and_b32 s2, s38, 0x3ffffff
	s_lshr_b64 s[38:39], s[38:39], 26
	s_mul_hi_u32 s41, s25, s61
	s_mul_hi_u32 s43, s26, s60
	s_add_u32 s42, s44, s42
	s_mul_i32 s46, s29, s1
	s_addc_u32 s41, s43, s41
	s_add_u32 s42, s42, s46
	s_mul_i32 s48, s27, s59
	s_addc_u32 s41, s41, s45
	s_mul_hi_u32 s47, s27, s59
	s_add_u32 s42, s42, s48
	s_mul_i32 s50, s30, s58
	s_addc_u32 s41, s41, s47
	s_mul_hi_u32 s49, s30, s58
	;; [unrolled: 4-line block ×4, first 2 shown]
	s_add_u32 s20, s20, s22
	s_mul_i32 s40, s7, s57
	s_addc_u32 s19, s19, s21
	s_add_u32 s20, s20, s40
	s_addc_u32 s19, s19, s23
	s_add_u32 s20, s20, s36
	s_mul_i32 s52, s2, 0x3d10
	s_addc_u32 s19, s19, s37
	s_mul_hi_u32 s51, s2, 0x3d10
	s_add_u32 s20, s20, s52
	s_addc_u32 s19, s19, s51
	s_add_u32 s14, s20, s14
	s_addc_u32 s15, s19, s15
	s_lshl_b64 s[40:41], s[2:3], 10
	s_mul_i32 s2, s17, s56
	s_mul_hi_u32 s17, s7, s56
	s_add_i32 s21, s17, s2
	s_mul_i32 s2, s27, s53
	s_mul_hi_u32 s17, s27, s1
	s_lshr_b64 s[36:37], s[14:15], 26
	s_add_i32 s43, s17, s2
	s_mul_hi_u32 s2, s28, s0
	s_mul_i32 s28, s28, s0
	s_mul_hi_u32 s45, s16, s58
	s_mul_i32 s46, s16, s58
	s_add_u32 s16, s38, s28
	s_addc_u32 s17, s39, s2
	s_mul_hi_u32 s22, s25, s57
	s_mul_i32 s25, s25, s57
	s_mul_hi_u32 s23, s26, s61
	s_mul_i32 s26, s26, s61
	s_and_b32 s2, s16, 0x3ffffff
	s_lshr_b64 s[16:17], s[16:17], 26
	s_add_u32 s25, s26, s25
	s_mul_hi_u32 s42, s29, s60
	s_mul_i32 s29, s29, s60
	s_addc_u32 s22, s23, s22
	s_add_u32 s23, s25, s29
	s_mul_i32 s27, s27, s1
	s_addc_u32 s22, s22, s42
	s_add_u32 s23, s23, s27
	s_mul_hi_u32 s44, s30, s59
	s_mul_i32 s30, s30, s59
	s_addc_u32 s22, s22, s43
	s_add_u32 s23, s23, s30
	s_addc_u32 s22, s22, s44
	s_add_u32 s23, s23, s46
	s_mul_hi_u32 s19, s18, s54
	s_mul_i32 s18, s18, s54
	s_addc_u32 s22, s22, s45
	s_add_u32 s18, s23, s18
	s_mul_hi_u32 s20, s24, s55
	s_mul_i32 s24, s24, s55
	s_addc_u32 s19, s22, s19
	s_add_u32 s18, s18, s24
	s_mul_i32 s7, s7, s56
	s_addc_u32 s19, s19, s20
	s_add_u32 s7, s18, s7
	s_addc_u32 s18, s19, s21
	s_add_u32 s7, s7, s40
	s_mul_i32 s38, s2, 0x3d10
	s_addc_u32 s18, s18, s41
	s_mul_hi_u32 s28, s2, 0x3d10
	s_add_u32 s7, s7, s38
	s_addc_u32 s18, s18, s28
	s_add_u32 s24, s7, s36
	s_addc_u32 s25, s18, s37
	s_lshr_b64 s[18:19], s[24:25], 26
	s_lshl_b64 s[26:27], s[2:3], 10
	s_mul_i32 s7, s16, 0x3d10
	s_mul_hi_u32 s2, s16, 0x3d10
	s_add_u32 s6, s7, s6
	s_addc_u32 s2, s2, 0
	s_add_u32 s6, s6, s26
	s_addc_u32 s2, s2, s27
	;; [unrolled: 2-line block ×3, first 2 shown]
	s_lshr_b64 s[6:7], s[28:29], 22
	s_lshl_b64 s[16:17], s[16:17], 14
	s_add_u32 s6, s6, s16
	s_addc_u32 s7, s7, s17
	s_mul_i32 s2, s7, 0x3d1
	s_mul_hi_u32 s16, s6, 0x3d1
	s_add_i32 s2, s16, s2
	s_mul_i32 s16, s6, 0x3d1
	s_add_u32 s16, s16, s31
	s_addc_u32 s17, s2, 0
	s_lshr_b64 s[18:19], s[16:17], 26
	s_lshl_b64 s[6:7], s[6:7], 6
	s_add_u32 s2, s6, s34
	s_addc_u32 s6, s7, 0
	s_add_u32 s26, s2, s18
	s_addc_u32 s27, s6, s19
	s_lshr_b64 s[6:7], s[26:27], 26
	s_add_u32 s6, s6, s35
	s_addc_u32 s7, s7, 0
	s_mov_b32 s2, s8
	s_mov_b64 s[0:1], s[4:5]
	s_mov_b32 s18, 11
	s_mov_b64 s[48:49], s[16:17]
	s_mov_b64 s[46:47], s[26:27]
	;; [unrolled: 1-line block ×4, first 2 shown]
	v_writelane_b32 v15, s2, 38
	s_mov_b64 s[30:31], s[8:9]
	s_mov_b64 s[40:41], s[10:11]
	s_mov_b64 s[38:39], s[12:13]
	s_mov_b64 s[36:37], s[14:15]
	s_mov_b64 s[44:45], s[24:25]
	s_mov_b64 s[50:51], s[28:29]
	v_writelane_b32 v15, s3, 39
.LBB0_9:                                ; =>This Inner Loop Header: Depth=1
	s_lshl_b32 s27, s34, 1
	s_lshl_b32 s29, s30, 1
	;; [unrolled: 1-line block ×4, first 2 shown]
	s_and_b32 s15, s38, 0x3ffffff
	s_and_b32 s2, s40, 0x3ffffff
	;; [unrolled: 1-line block ×6, first 2 shown]
	s_lshl_b32 s11, s42, 1
	s_and_b32 s13, s36, 0x3ffffff
	s_and_b32 s47, s17, 0x7fffffe
	;; [unrolled: 1-line block ×3, first 2 shown]
	s_mul_i32 s49, s15, s41
	s_mul_i32 s71, s29, s2
	s_mul_hi_u32 s50, s15, s41
	s_mul_hi_u32 s60, s29, s2
	s_mul_hi_u32 s78, s15, s29
	s_mul_i32 s79, s15, s29
	s_mul_hi_u32 s86, s13, s29
	s_mul_i32 s87, s13, s29
	s_mul_hi_u32 s93, s9, s29
	;; [unrolled: 2-line block ×3, first 2 shown]
	s_mul_i32 s8, s5, s29
	s_add_u32 s29, s49, s71
	s_mul_i32 s51, s13, s11
	s_addc_u32 s60, s50, s60
	s_mul_hi_u32 s53, s13, s11
	s_add_u32 s29, s29, s51
	s_mul_i32 s54, s9, s45
	s_addc_u32 s71, s60, s53
	s_mul_hi_u32 s23, s9, s45
	s_add_u32 s29, s29, s54
	s_mul_hi_u32 s66, s2, s2
	s_mul_i32 s67, s2, s2
	s_mul_hi_u32 s84, s2, s11
	s_mul_i32 s85, s2, s11
	s_mul_i32 s22, s5, s47
	s_mul_hi_u32 s69, s2, s47
	s_mul_i32 s70, s2, s47
	s_mul_hi_u32 s63, s2, s45
	;; [unrolled: 2-line block ×3, first 2 shown]
	s_mul_i32 s60, s2, s41
	s_addc_u32 s2, s71, s23
	s_mul_hi_u32 s20, s5, s47
	s_add_u32 s72, s29, s22
	s_addc_u32 s73, s2, s20
	s_and_b32 s29, s72, 0x3fffffe
	s_and_b32 s2, s48, 0x3ffffff
	s_lshr_b64 s[72:73], s[72:73], 26
	s_mul_hi_u32 s20, s2, s2
	s_mul_i32 s22, s2, s2
	s_add_u32 s2, s79, s67
	s_mul_i32 s77, s13, s41
	s_addc_u32 s23, s78, s66
	s_mul_hi_u32 s76, s13, s41
	s_add_u32 s2, s2, s77
	s_mul_i32 s57, s9, s11
	s_addc_u32 s23, s23, s76
	s_mul_hi_u32 s27, s9, s11
	;; [unrolled: 4-line block ×3, first 2 shown]
	s_add_u32 s2, s2, s75
	s_addc_u32 s23, s23, s74
	s_add_u32 s66, s2, s72
	s_addc_u32 s67, s23, s73
	s_and_b32 s2, s66, 0x3ffffff
	s_lshr_b64 s[66:67], s[66:67], 26
	s_mul_i32 s27, s2, 0x3d10
	s_mul_hi_u32 s23, s2, 0x3d10
	s_add_u32 s72, s27, s22
	s_addc_u32 s73, s23, s20
	s_lshl_b32 s20, s40, 1
	s_lshl_b64 s[74:75], s[2:3], 10
	s_and_b32 s2, s46, 0x3ffffff
	s_and_b32 s20, s20, 0x7fffffe
	s_mul_i32 s37, s42, s43
	s_mul_hi_u32 s39, s42, s42
	s_mul_i32 s31, s42, s42
	s_mul_hi_u32 s35, s15, s15
	s_mul_i32 s52, s15, s15
	s_mul_hi_u32 s17, s15, s11
	s_mul_i32 s25, s15, s11
	s_mul_i32 s88, s47, s43
	s_mul_hi_u32 s89, s47, s42
	s_mul_i32 s90, s47, s42
	s_mul_i32 s95, s45, s43
	s_mul_hi_u32 vcc_lo, s45, s42
	s_mul_i32 vcc_hi, s45, s42
	s_mul_hi_u32 s56, s15, s47
	s_mul_i32 s58, s15, s47
	s_mul_hi_u32 s42, s15, s45
	s_mul_i32 s43, s15, s45
	s_and_b32 s27, s72, 0x3fffffd
	s_lshr_b64 s[72:73], s[72:73], 26
	s_mul_hi_u32 s22, s47, s2
	s_mul_i32 s23, s47, s2
	s_mul_hi_u32 s40, s2, s2
	s_mul_i32 s46, s2, s2
	;; [unrolled: 2-line block ×3, first 2 shown]
	s_add_u32 s15, s87, s15
	s_mul_i32 s81, s9, s41
	s_addc_u32 s2, s86, s2
	s_mul_hi_u32 s80, s9, s41
	s_add_u32 s15, s15, s81
	s_mul_i32 s65, s5, s11
	s_addc_u32 s2, s2, s80
	s_mul_hi_u32 s64, s5, s11
	s_add_u32 s15, s15, s65
	s_addc_u32 s2, s2, s64
	s_add_u32 s64, s15, s66
	s_addc_u32 s65, s2, s67
	s_and_b32 s2, s64, 0x3ffffff
	s_lshr_b64 s[64:65], s[64:65], 26
	s_add_u32 s23, s74, s23
	s_addc_u32 s22, s75, s22
	s_add_u32 s23, s23, s72
	s_mul_i32 s66, s2, 0x3d10
	s_addc_u32 s22, s22, s73
	s_mul_hi_u32 s15, s2, 0x3d10
	s_add_u32 s66, s23, s66
	s_addc_u32 s67, s22, s15
	s_mul_i32 s57, s13, s20
	s_and_b32 s15, s66, 0x3ffffff
	s_lshl_b64 s[72:73], s[2:3], 10
	s_add_i32 s89, s89, s88
	s_lshr_b64 s[66:67], s[66:67], 26
	s_mul_hi_u32 s48, s13, s20
	s_add_u32 s2, s57, s52
	s_addc_u32 s22, s48, s35
	s_add_u32 s2, s2, s94
	s_mul_i32 s92, s5, s41
	s_addc_u32 s22, s22, s93
	s_mul_hi_u32 s91, s5, s41
	s_add_u32 s2, s2, s92
	s_addc_u32 s22, s22, s91
	s_add_u32 s64, s2, s64
	s_addc_u32 s65, s22, s65
	s_and_b32 s2, s64, 0x3ffffff
	s_lshr_b64 s[64:65], s[64:65], 26
	s_add_u32 s35, s90, s46
	s_addc_u32 s40, s89, s40
	s_add_u32 s35, s35, s72
	s_mul_i32 s23, s2, 0x3d10
	s_addc_u32 s40, s40, s73
	s_mul_hi_u32 s22, s2, 0x3d10
	s_add_u32 s23, s35, s23
	s_addc_u32 s22, s40, s22
	s_add_u32 s66, s23, s66
	s_addc_u32 s67, s22, s67
	s_lshl_b32 s22, s38, 1
	s_lshl_b64 s[72:73], s[2:3], 10
	s_and_b32 s2, s34, 0x3ffffff
	s_and_b32 s22, s22, 0x7fffffe
	s_mul_hi_u32 s61, s13, s13
	s_mul_i32 s62, s13, s13
	s_mul_hi_u32 s19, s13, s47
	s_mul_i32 s21, s13, s47
	;; [unrolled: 2-line block ×3, first 2 shown]
	s_mul_i32 s76, s9, s20
	s_and_b32 s52, s66, 0x3ffffff
	s_add_i32 vcc_lo, vcc_lo, s95
	s_lshr_b64 s[34:35], s[66:67], 26
	s_mul_hi_u32 s23, s2, s47
	s_mul_i32 s38, s2, s47
	s_mul_hi_u32 s46, s2, s45
	s_mul_i32 s48, s2, s45
	;; [unrolled: 2-line block ×5, first 2 shown]
	s_mul_hi_u32 s71, s9, s20
	s_add_u32 s13, s76, s13
	s_addc_u32 s2, s71, s2
	s_add_u32 s8, s13, s8
	s_addc_u32 s2, s2, s4
	;; [unrolled: 2-line block ×3, first 2 shown]
	s_and_b32 s2, s64, 0x3ffffff
	s_lshr_b64 s[64:65], s[64:65], 26
	s_add_u32 s13, s38, vcc_hi
	s_addc_u32 s23, s23, vcc_lo
	s_add_u32 s13, s13, s72
	s_mul_i32 s8, s2, 0x3d10
	s_addc_u32 s23, s23, s73
	s_mul_hi_u32 s4, s2, 0x3d10
	s_add_u32 s8, s13, s8
	s_addc_u32 s4, s23, s4
	s_add_u32 s34, s8, s34
	s_addc_u32 s35, s4, s35
	s_lshl_b64 s[66:67], s[2:3], 10
	s_add_i32 s2, s39, s37
	s_mul_i32 s79, s9, s22
	s_and_b32 s13, s30, 0x3ffffff
	s_lshr_b64 s[38:39], s[34:35], 26
	s_add_i32 s23, s2, s37
	s_mul_hi_u32 s40, s9, s22
	s_add_u32 s2, s79, s62
	s_mul_hi_u32 s77, s5, s20
	s_mul_i32 s20, s5, s20
	s_addc_u32 s30, s40, s61
	s_add_u32 s2, s2, s20
	s_addc_u32 s20, s30, s77
	s_add_u32 s40, s2, s64
	s_mul_hi_u32 s73, s41, s13
	s_mul_i32 s76, s41, s13
	s_addc_u32 s41, s20, s65
	s_and_b32 s2, s40, 0x3ffffff
	s_lshr_b64 s[40:41], s[40:41], 26
	s_add_u32 s31, s48, s31
	s_mul_i32 s8, s13, s47
	s_addc_u32 s23, s46, s23
	s_mul_hi_u32 s4, s13, s47
	s_add_u32 s8, s31, s8
	s_addc_u32 s4, s23, s4
	s_add_u32 s8, s8, s66
	s_mul_i32 s30, s2, 0x3d10
	s_addc_u32 s4, s4, s67
	s_mul_hi_u32 s20, s2, 0x3d10
	s_add_u32 s8, s8, s30
	s_addc_u32 s4, s4, s20
	s_add_u32 s30, s8, s38
	s_addc_u32 s31, s4, s39
	s_lshl_b64 s[38:39], s[2:3], 10
	s_lshl_b32 s2, s36, 1
	s_and_b32 s2, s2, 0x7fffffe
	s_mul_hi_u32 s80, s5, s22
	s_mul_i32 s22, s5, s22
	s_lshr_b64 s[36:37], s[30:31], 26
	s_mul_i32 s8, s2, s9
	s_mul_hi_u32 s82, s9, s9
	s_mul_i32 s83, s9, s9
	s_mul_hi_u32 s49, s9, s47
	;; [unrolled: 2-line block ×3, first 2 shown]
	s_mul_hi_u32 s9, s5, s2
	s_mul_i32 s20, s5, s2
	s_add_u32 s2, s22, s8
	s_addc_u32 s4, s80, s4
	s_add_u32 s40, s2, s40
	s_addc_u32 s41, s4, s41
	s_mul_hi_u32 s35, s13, s45
	s_mul_i32 s45, s13, s45
	s_and_b32 s2, s40, 0x3ffffff
	s_lshr_b64 s[46:47], s[40:41], 26
	s_add_u32 s22, s45, s74
	s_addc_u32 s23, s35, s57
	s_add_u32 s22, s22, s70
	s_addc_u32 s23, s23, s69
	s_add_u32 s22, s22, s38
	s_mul_i32 s8, s2, 0x3d10
	s_addc_u32 s23, s23, s39
	s_mul_hi_u32 s4, s2, 0x3d10
	s_add_u32 s8, s22, s8
	s_addc_u32 s4, s23, s4
	s_add_u32 s40, s8, s36
	s_addc_u32 s41, s4, s37
	s_lshl_b64 s[36:37], s[2:3], 10
	s_lshr_b64 s[38:39], s[40:41], 26
	s_add_u32 s2, s20, s83
	s_addc_u32 s4, s9, s82
	s_add_u32 s46, s2, s46
	s_addc_u32 s47, s4, s47
	s_mul_i32 s72, s13, s11
	s_and_b32 s2, s46, 0x3ffffff
	s_lshr_b64 s[46:47], s[46:47], 26
	s_mul_hi_u32 s71, s13, s11
	s_add_u32 s9, s72, s78
	s_addc_u32 s20, s71, s75
	s_add_u32 s9, s9, s68
	s_addc_u32 s20, s20, s63
	;; [unrolled: 2-line block ×3, first 2 shown]
	s_add_u32 s9, s9, s36
	s_mul_i32 s8, s2, 0x3d10
	s_addc_u32 s20, s20, s37
	s_mul_hi_u32 s4, s2, 0x3d10
	s_add_u32 s8, s9, s8
	s_addc_u32 s4, s20, s4
	s_add_u32 s38, s8, s38
	s_addc_u32 s39, s4, s39
	s_lshl_b64 s[36:37], s[2:3], 10
	s_lshl_b32 s2, s44, 1
	s_and_b32 s2, s2, 0x7fffffe
	s_lshr_b64 s[44:45], s[38:39], 26
	s_mul_hi_u32 s4, s2, s5
	s_mul_i32 s2, s2, s5
	s_add_u32 s46, s46, s2
	s_addc_u32 s47, s47, s4
	s_and_b32 s2, s46, 0x3ffffff
	s_lshr_b64 s[46:47], s[46:47], 26
	s_add_u32 s8, s85, s76
	s_addc_u32 s9, s84, s73
	s_add_u32 s8, s8, s43
	s_addc_u32 s9, s9, s42
	;; [unrolled: 2-line block ×3, first 2 shown]
	s_add_u32 s8, s8, s36
	s_mul_hi_u32 s55, s5, s5
	s_mul_i32 s59, s5, s5
	s_mul_i32 s5, s2, 0x3d10
	s_addc_u32 s9, s9, s37
	s_mul_hi_u32 s4, s2, 0x3d10
	s_add_u32 s5, s8, s5
	s_addc_u32 s4, s9, s4
	s_add_u32 s36, s5, s44
	s_addc_u32 s37, s4, s45
	s_lshl_b64 s[44:45], s[2:3], 10
	s_lshr_b64 s[42:43], s[36:37], 26
	s_add_u32 s46, s46, s59
	s_addc_u32 s47, s47, s55
	s_mul_hi_u32 s11, s13, s13
	s_mul_i32 s13, s13, s13
	s_and_b32 s2, s46, 0x3ffffff
	s_lshr_b64 s[46:47], s[46:47], 26
	s_add_u32 s8, s60, s13
	s_addc_u32 s11, s54, s11
	s_add_u32 s8, s8, s25
	s_addc_u32 s11, s11, s17
	;; [unrolled: 2-line block ×4, first 2 shown]
	s_add_u32 s8, s8, s44
	s_mul_i32 s5, s2, 0x3d10
	s_addc_u32 s11, s11, s45
	s_mul_hi_u32 s4, s2, 0x3d10
	s_add_u32 s5, s8, s5
	s_addc_u32 s4, s11, s4
	s_add_u32 s44, s5, s42
	s_addc_u32 s45, s4, s43
	s_mul_i32 s13, s46, 0x3d10
	s_lshl_b64 s[42:43], s[2:3], 10
	s_lshr_b64 s[48:49], s[44:45], 26
	s_mul_hi_u32 s9, s46, 0x3d10
	s_add_u32 s2, s13, s29
	s_addc_u32 s4, s9, 0
	s_add_u32 s2, s2, s42
	s_addc_u32 s4, s4, s43
	;; [unrolled: 2-line block ×3, first 2 shown]
	s_lshl_b64 s[42:43], s[46:47], 14
	s_lshr_b64 s[46:47], s[50:51], 22
	s_add_u32 s42, s46, s42
	s_addc_u32 s43, s47, s43
	s_mul_hi_u32 s2, s42, 0x3d1
	s_mul_i32 s5, s43, 0x3d1
	s_mul_i32 s4, s42, 0x3d1
	s_add_i32 s2, s2, s5
	s_add_u32 s48, s4, s27
	s_addc_u32 s49, s2, 0
	s_lshl_b64 s[42:43], s[42:43], 6
	s_lshr_b64 s[46:47], s[48:49], 26
	s_add_u32 s2, s42, s15
	s_addc_u32 s4, s43, 0
	s_add_u32 s46, s2, s46
	s_addc_u32 s47, s4, s47
	s_lshr_b64 s[42:43], s[46:47], 26
	s_add_u32 s42, s42, s52
	s_addc_u32 s43, s43, 0
	s_add_i32 s18, s18, -1
	s_cmp_lg_u32 s18, 0
	s_cbranch_scc1 .LBB0_9
; %bb.10:
	s_and_b32 s2, s28, 0x3fffff
	s_and_b32 s28, s14, 0x3ffffff
	;; [unrolled: 1-line block ×3, first 2 shown]
	s_mul_i32 s11, s43, s28
	s_mul_hi_u32 s13, s42, s28
	s_and_b32 s27, s34, 0x3ffffff
	s_and_b32 s31, s12, 0x3ffffff
	s_and_b32 s29, s30, 0x3ffffff
	s_and_b32 s35, s10, 0x3ffffff
	v_readlane_b32 s18, v15, 38
	s_mul_i32 s21, s36, s7
	s_mul_hi_u32 s22, s36, s6
	s_and_b32 s3, s48, 0x3ffffff
	s_and_b32 s25, s46, 0x3ffffff
	;; [unrolled: 1-line block ×3, first 2 shown]
	s_add_i32 s13, s13, s11
	s_mul_i32 s14, s27, s31
	s_mul_i32 s15, s29, s35
	s_and_b32 s30, s40, 0x3ffffff
	s_and_b32 s37, s18, 0x3ffffff
	;; [unrolled: 1-line block ×4, first 2 shown]
	s_add_i32 s22, s22, s21
	s_and_b32 s39, s44, 0x3ffffff
	s_and_b32 s40, s26, 0x3ffffff
	;; [unrolled: 1-line block ×4, first 2 shown]
	s_mul_hi_u32 s12, s27, s31
	s_mul_hi_u32 s10, s29, s35
	s_add_u32 s14, s15, s14
	s_mul_i32 s18, s30, s37
	s_addc_u32 s10, s10, s12
	s_mul_hi_u32 s17, s30, s37
	s_add_u32 s12, s14, s18
	v_readlane_b32 s19, v15, 39
	s_mul_i32 s20, s34, s38
	s_addc_u32 s10, s10, s17
	s_mul_hi_u32 s19, s34, s38
	s_add_u32 s12, s12, s20
	s_mul_i32 s21, s36, s6
	s_addc_u32 s10, s10, s19
	s_add_u32 s12, s12, s21
	s_mul_i32 s44, s39, s40
	s_addc_u32 s10, s10, s22
	s_mul_hi_u32 s23, s39, s40
	s_add_u32 s12, s12, s44
	s_mul_i32 s45, s26, s41
	s_addc_u32 s10, s10, s23
	s_mul_hi_u32 s16, s26, s41
	s_add_u32 s12, s12, s45
	s_mul_i32 s5, s3, s2
	s_addc_u32 s10, s10, s16
	s_mul_hi_u32 s4, s3, s2
	s_add_u32 s5, s12, s5
	s_mul_i32 s9, s25, s24
	s_addc_u32 s4, s10, s4
	s_mul_hi_u32 s8, s25, s24
	s_add_u32 s5, s5, s9
	s_mul_i32 s11, s42, s28
	s_addc_u32 s4, s4, s8
	s_add_u32 s8, s5, s11
	s_addc_u32 s9, s4, s13
	s_mul_i32 s13, s43, s24
	s_mul_hi_u32 s14, s42, s24
	s_mul_i32 s46, s39, s7
	s_mul_hi_u32 s47, s39, s6
	s_and_b32 s18, s8, 0x3ffffff
	s_lshr_b64 s[8:9], s[8:9], 26
	s_add_i32 s14, s14, s13
	s_mul_i32 s16, s27, s28
	s_mul_i32 s19, s29, s31
	s_add_i32 s47, s47, s46
	s_mul_hi_u32 s15, s27, s28
	s_mul_hi_u32 s17, s29, s31
	s_add_u32 s16, s19, s16
	s_mul_i32 s21, s30, s35
	s_addc_u32 s15, s17, s15
	s_mul_hi_u32 s20, s30, s35
	s_add_u32 s16, s16, s21
	s_mul_i32 s23, s34, s37
	s_addc_u32 s15, s15, s20
	s_mul_hi_u32 s22, s34, s37
	s_add_u32 s16, s16, s23
	s_mul_i32 s45, s36, s38
	s_addc_u32 s15, s15, s22
	s_mul_hi_u32 s44, s36, s38
	s_add_u32 s16, s16, s45
	s_mul_i32 s46, s39, s6
	s_addc_u32 s15, s15, s44
	s_add_u32 s16, s16, s46
	s_mul_i32 s49, s26, s40
	s_addc_u32 s15, s15, s47
	s_mul_hi_u32 s48, s26, s40
	s_add_u32 s16, s16, s49
	s_mul_i32 s12, s25, s2
	s_addc_u32 s15, s15, s48
	s_mul_hi_u32 s4, s25, s2
	s_add_u32 s12, s16, s12
	s_mul_i32 s13, s42, s24
	s_addc_u32 s4, s15, s4
	s_add_u32 s12, s12, s13
	s_addc_u32 s4, s4, s14
	s_add_u32 s8, s12, s8
	s_addc_u32 s9, s4, s9
	s_and_b32 s4, s8, 0x3ffffff
	s_mul_i32 s10, s3, s41
	s_lshr_b64 s[8:9], s[8:9], 26
	s_mul_i32 s13, s4, 0x3d10
	s_mov_b32 s5, 0
	s_mul_hi_u32 s11, s3, s41
	s_mul_hi_u32 s12, s4, 0x3d10
	s_add_u32 s10, s13, s10
	s_addc_u32 s11, s12, s11
	s_lshl_b64 s[12:13], s[4:5], 10
	s_mul_i32 s4, s43, s2
	s_mul_hi_u32 s19, s42, s2
	s_mul_i32 s53, s26, s7
	s_mul_hi_u32 s54, s26, s6
	s_and_b32 s44, s10, 0x3ffffff
	s_lshr_b64 s[10:11], s[10:11], 26
	s_add_i32 s19, s19, s4
	s_mul_i32 s21, s27, s24
	s_mul_i32 s23, s29, s28
	s_add_i32 s54, s54, s53
	s_mul_hi_u32 s20, s27, s24
	s_mul_hi_u32 s22, s29, s28
	s_add_u32 s21, s23, s21
	s_mul_i32 s46, s30, s31
	s_addc_u32 s20, s22, s20
	s_mul_hi_u32 s45, s30, s31
	s_add_u32 s21, s21, s46
	s_mul_i32 s48, s34, s35
	s_addc_u32 s20, s20, s45
	s_mul_hi_u32 s47, s34, s35
	s_add_u32 s21, s21, s48
	s_mul_i32 s50, s36, s37
	s_addc_u32 s20, s20, s47
	s_mul_hi_u32 s49, s36, s37
	s_add_u32 s21, s21, s50
	s_mul_i32 s52, s39, s38
	s_addc_u32 s20, s20, s49
	s_mul_hi_u32 s51, s39, s38
	s_add_u32 s21, s21, s52
	s_mul_i32 s53, s26, s6
	s_addc_u32 s20, s20, s51
	s_add_u32 s21, s21, s53
	s_mul_i32 s4, s42, s2
	s_addc_u32 s20, s20, s54
	s_add_u32 s4, s21, s4
	s_addc_u32 s19, s20, s19
	s_add_u32 s8, s4, s8
	s_addc_u32 s9, s19, s9
	s_mul_i32 s15, s3, s40
	s_mul_i32 s17, s25, s41
	s_and_b32 s4, s8, 0x3ffffff
	s_lshr_b64 s[8:9], s[8:9], 26
	s_mul_hi_u32 s14, s3, s40
	s_mul_hi_u32 s16, s25, s41
	s_add_u32 s15, s17, s15
	s_addc_u32 s14, s16, s14
	s_add_u32 s12, s15, s12
	s_addc_u32 s13, s14, s13
	s_add_u32 s10, s12, s10
	s_mul_i32 s20, s4, 0x3d10
	s_addc_u32 s11, s13, s11
	s_mul_hi_u32 s19, s4, 0x3d10
	s_add_u32 s10, s10, s20
	s_addc_u32 s11, s11, s19
	s_lshl_b64 s[12:13], s[4:5], 10
	s_mul_i32 s4, s3, s7
	s_mul_hi_u32 s14, s3, s6
	s_add_i32 s14, s14, s4
	s_mul_i32 s4, s43, s41
	s_mul_hi_u32 s19, s42, s41
	s_and_b32 s45, s10, 0x3ffffff
	s_lshr_b64 s[10:11], s[10:11], 26
	s_add_i32 s19, s19, s4
	s_mul_i32 s21, s27, s2
	s_mul_i32 s23, s29, s24
	s_mul_hi_u32 s4, s27, s2
	s_mul_hi_u32 s22, s29, s24
	s_add_u32 s21, s23, s21
	s_mul_i32 s47, s30, s28
	s_addc_u32 s4, s22, s4
	s_mul_hi_u32 s46, s30, s28
	s_add_u32 s21, s21, s47
	s_mul_i32 s49, s34, s31
	s_addc_u32 s4, s4, s46
	;; [unrolled: 4-line block ×5, first 2 shown]
	s_mul_hi_u32 s54, s26, s38
	s_add_u32 s21, s21, s55
	s_addc_u32 s4, s4, s54
	s_add_u32 s8, s21, s8
	s_addc_u32 s9, s4, s9
	s_mul_i32 s15, s3, s6
	s_mul_i32 s17, s25, s40
	s_and_b32 s4, s8, 0x3ffffff
	s_lshr_b64 s[8:9], s[8:9], 26
	s_mul_hi_u32 s16, s25, s40
	s_add_u32 s15, s17, s15
	s_mul_i32 s20, s42, s41
	s_addc_u32 s14, s16, s14
	s_add_u32 s15, s15, s20
	s_addc_u32 s14, s14, s19
	s_add_u32 s12, s15, s12
	s_mul_i32 s22, s4, 0x3d10
	s_addc_u32 s13, s14, s13
	s_mul_hi_u32 s21, s4, 0x3d10
	s_add_u32 s12, s12, s22
	s_addc_u32 s13, s13, s21
	s_add_u32 s10, s12, s10
	s_addc_u32 s11, s13, s11
	s_lshl_b64 s[12:13], s[4:5], 10
	s_mul_i32 s4, s25, s7
	s_mul_hi_u32 s14, s25, s6
	s_add_i32 s19, s14, s4
	s_mul_i32 s4, s43, s40
	s_mul_hi_u32 s14, s42, s40
	s_and_b32 s46, s10, 0x3ffffff
	s_lshr_b64 s[10:11], s[10:11], 26
	s_add_i32 s21, s14, s4
	s_mul_i32 s14, s29, s2
	s_mul_i32 s48, s30, s24
	s_mul_hi_u32 s4, s29, s2
	s_mul_hi_u32 s15, s30, s24
	s_add_u32 s14, s48, s14
	s_mul_i32 s50, s34, s28
	s_addc_u32 s4, s15, s4
	s_mul_hi_u32 s49, s34, s28
	s_add_u32 s14, s14, s50
	s_mul_i32 s52, s36, s31
	s_addc_u32 s4, s4, s49
	;; [unrolled: 4-line block ×4, first 2 shown]
	s_mul_hi_u32 s55, s26, s37
	s_add_u32 s14, s14, s56
	s_addc_u32 s4, s4, s55
	s_add_u32 s8, s14, s8
	s_addc_u32 s9, s4, s9
	s_mul_i32 s17, s3, s38
	s_mul_i32 s47, s27, s41
	s_and_b32 s4, s8, 0x3ffffff
	s_lshr_b64 s[14:15], s[8:9], 26
	s_mul_hi_u32 s16, s3, s38
	s_mul_hi_u32 s23, s27, s41
	s_add_u32 s17, s17, s47
	s_mul_i32 s20, s25, s6
	s_addc_u32 s16, s16, s23
	s_add_u32 s17, s17, s20
	s_mul_i32 s22, s42, s40
	s_addc_u32 s16, s16, s19
	s_add_u32 s17, s17, s22
	s_addc_u32 s16, s16, s21
	s_add_u32 s12, s17, s12
	s_mul_i32 s9, s4, 0x3d10
	s_addc_u32 s13, s16, s13
	s_mul_hi_u32 s8, s4, 0x3d10
	s_add_u32 s9, s12, s9
	s_addc_u32 s12, s13, s8
	s_add_u32 s8, s9, s10
	s_addc_u32 s9, s12, s11
	s_lshl_b64 s[12:13], s[4:5], 10
	s_mul_i32 s4, s42, s7
	s_mul_hi_u32 s21, s42, s6
	s_add_i32 s4, s21, s4
	s_mul_i32 s21, s43, s6
	s_lshr_b64 s[10:11], s[8:9], 26
	s_add_i32 s21, s4, s21
	s_mul_i32 s50, s30, s2
	s_mul_i32 s52, s34, s24
	s_mul_hi_u32 s4, s30, s2
	s_mul_hi_u32 s51, s34, s24
	s_add_u32 s50, s52, s50
	s_mul_i32 s54, s36, s28
	s_addc_u32 s4, s51, s4
	s_mul_hi_u32 s53, s36, s28
	s_add_u32 s50, s50, s54
	s_mul_i32 s56, s39, s31
	s_addc_u32 s4, s4, s53
	;; [unrolled: 4-line block ×3, first 2 shown]
	s_mul_hi_u32 s57, s26, s35
	s_add_u32 s50, s50, s58
	s_addc_u32 s4, s4, s57
	s_add_u32 s14, s50, s14
	s_addc_u32 s15, s4, s15
	s_mul_i32 s47, s27, s40
	s_mul_i32 s49, s29, s41
	s_and_b32 s4, s14, 0x3ffffff
	s_lshr_b64 s[14:15], s[14:15], 26
	s_mul_hi_u32 s23, s27, s40
	s_mul_hi_u32 s48, s29, s41
	s_add_u32 s47, s49, s47
	s_mul_i32 s17, s3, s37
	s_addc_u32 s23, s48, s23
	s_mul_hi_u32 s16, s3, s37
	s_add_u32 s17, s47, s17
	s_mul_i32 s20, s25, s38
	s_addc_u32 s16, s23, s16
	;; [unrolled: 4-line block ×3, first 2 shown]
	s_add_u32 s17, s17, s22
	s_addc_u32 s16, s16, s21
	s_add_u32 s12, s17, s12
	s_mul_i32 s51, s4, 0x3d10
	s_addc_u32 s13, s16, s13
	s_mul_hi_u32 s50, s4, 0x3d10
	s_add_u32 s12, s12, s51
	s_addc_u32 s13, s13, s50
	s_add_u32 s10, s12, s10
	s_addc_u32 s11, s13, s11
	s_lshl_b64 s[16:17], s[4:5], 10
	s_mul_i32 s4, s43, s38
	s_mul_hi_u32 s23, s42, s38
	s_add_i32 s23, s23, s4
	s_mul_i32 s4, s27, s7
	s_mul_hi_u32 s48, s27, s6
	s_lshr_b64 s[12:13], s[10:11], 26
	s_add_i32 s48, s48, s4
	s_mul_i32 s54, s34, s2
	s_mul_i32 s56, s36, s24
	s_mul_hi_u32 s4, s34, s2
	s_mul_hi_u32 s55, s36, s24
	s_add_u32 s54, s56, s54
	s_mul_i32 s58, s39, s28
	s_addc_u32 s4, s55, s4
	s_mul_hi_u32 s57, s39, s28
	s_add_u32 s54, s54, s58
	s_mul_i32 s60, s26, s31
	s_addc_u32 s4, s4, s57
	s_mul_hi_u32 s59, s26, s31
	s_add_u32 s54, s54, s60
	s_addc_u32 s4, s4, s59
	s_add_u32 s14, s54, s14
	s_addc_u32 s15, s4, s15
	s_mul_i32 s49, s27, s6
	s_mul_i32 s51, s29, s40
	s_and_b32 s4, s14, 0x3ffffff
	s_lshr_b64 s[14:15], s[14:15], 26
	s_mul_hi_u32 s50, s29, s40
	s_add_u32 s49, s51, s49
	s_mul_i32 s53, s30, s41
	s_addc_u32 s48, s50, s48
	s_mul_hi_u32 s52, s30, s41
	s_add_u32 s49, s49, s53
	s_mul_i32 s20, s3, s35
	s_addc_u32 s48, s48, s52
	;; [unrolled: 4-line block ×4, first 2 shown]
	s_add_u32 s20, s20, s47
	s_addc_u32 s19, s19, s23
	s_add_u32 s16, s20, s16
	s_mul_i32 s55, s4, 0x3d10
	s_addc_u32 s17, s19, s17
	s_mul_hi_u32 s54, s4, 0x3d10
	s_add_u32 s16, s16, s55
	s_addc_u32 s17, s17, s54
	s_add_u32 s12, s16, s12
	s_addc_u32 s13, s17, s13
	s_lshl_b64 s[48:49], s[4:5], 10
	s_mul_i32 s4, s43, s37
	s_mul_hi_u32 s23, s42, s37
	s_add_i32 s23, s23, s4
	s_mul_i32 s4, s29, s7
	s_mul_hi_u32 s50, s29, s6
	s_lshr_b64 s[16:17], s[12:13], 26
	s_add_i32 s54, s50, s4
	s_mul_i32 s50, s36, s2
	s_mul_i32 s60, s39, s24
	s_mul_hi_u32 s4, s36, s2
	s_mul_hi_u32 s51, s39, s24
	s_add_u32 s50, s60, s50
	s_mul_i32 s62, s26, s28
	s_addc_u32 s4, s51, s4
	s_mul_hi_u32 s61, s26, s28
	s_add_u32 s50, s50, s62
	s_addc_u32 s4, s4, s61
	s_add_u32 s14, s50, s14
	s_addc_u32 s15, s4, s15
	s_mul_i32 s53, s27, s38
	s_mul_i32 s55, s29, s6
	s_and_b32 s4, s14, 0x3ffffff
	s_lshr_b64 s[50:51], s[14:15], 26
	s_mul_hi_u32 s52, s27, s38
	s_add_u32 s53, s55, s53
	s_mul_i32 s57, s30, s40
	s_addc_u32 s52, s54, s52
	s_mul_hi_u32 s56, s30, s40
	s_add_u32 s53, s53, s57
	s_mul_i32 s59, s34, s41
	s_addc_u32 s52, s52, s56
	;; [unrolled: 4-line block ×5, first 2 shown]
	s_add_u32 s20, s20, s47
	s_addc_u32 s19, s19, s23
	s_add_u32 s20, s20, s48
	s_mul_i32 s15, s4, 0x3d10
	s_addc_u32 s19, s19, s49
	s_mul_hi_u32 s14, s4, 0x3d10
	s_add_u32 s15, s20, s15
	s_addc_u32 s19, s19, s14
	s_add_u32 s14, s15, s16
	s_addc_u32 s15, s19, s17
	s_lshl_b64 s[48:49], s[4:5], 10
	s_mul_i32 s4, s43, s35
	s_mul_hi_u32 s23, s42, s35
	s_add_i32 s23, s23, s4
	s_mul_i32 s4, s30, s7
	s_mul_hi_u32 s56, s30, s6
	s_lshr_b64 s[16:17], s[14:15], 26
	s_add_i32 s56, s56, s4
	s_mul_i32 s61, s39, s2
	s_mul_i32 s62, s26, s24
	s_mul_hi_u32 s4, s39, s2
	s_add_u32 s61, s62, s61
	s_mul_hi_u32 s62, s26, s24
	s_addc_u32 s4, s62, s4
	s_add_u32 s50, s61, s50
	s_addc_u32 s51, s4, s51
	s_mul_i32 s53, s27, s37
	s_mul_i32 s55, s29, s38
	s_and_b32 s4, s50, 0x3ffffff
	s_lshr_b64 s[50:51], s[50:51], 26
	s_mul_hi_u32 s52, s27, s37
	s_mul_hi_u32 s54, s29, s38
	s_add_u32 s53, s55, s53
	s_mul_i32 s57, s30, s6
	s_addc_u32 s52, s54, s52
	s_add_u32 s53, s53, s57
	s_mul_i32 s59, s34, s40
	s_addc_u32 s52, s52, s56
	s_mul_hi_u32 s58, s34, s40
	s_add_u32 s53, s53, s59
	s_mul_i32 s61, s36, s41
	s_addc_u32 s52, s52, s58
	s_mul_hi_u32 s60, s36, s41
	;; [unrolled: 4-line block ×4, first 2 shown]
	s_add_u32 s20, s20, s22
	s_mul_i32 s47, s42, s35
	s_addc_u32 s19, s19, s21
	s_add_u32 s20, s20, s47
	s_addc_u32 s19, s19, s23
	s_add_u32 s20, s20, s48
	s_mul_i32 s63, s4, 0x3d10
	s_addc_u32 s19, s19, s49
	s_mul_hi_u32 s62, s4, 0x3d10
	s_add_u32 s20, s20, s63
	s_addc_u32 s19, s19, s62
	s_add_u32 s16, s20, s16
	s_addc_u32 s17, s19, s17
	s_lshl_b64 s[52:53], s[4:5], 10
	s_mul_hi_u32 s19, s3, s24
	s_mul_i32 s20, s3, s24
	s_mul_i32 s3, s43, s31
	s_mul_hi_u32 s4, s42, s31
	s_add_i32 s22, s4, s3
	s_mul_i32 s3, s34, s7
	s_mul_hi_u32 s4, s34, s6
	s_lshr_b64 s[48:49], s[16:17], 26
	s_add_i32 s7, s4, s3
	s_mul_hi_u32 s3, s26, s2
	s_mul_i32 s26, s26, s2
	s_add_u32 s2, s50, s26
	s_addc_u32 s3, s51, s3
	s_mul_hi_u32 s21, s25, s28
	s_mul_i32 s25, s25, s28
	s_mul_hi_u32 s24, s27, s35
	s_mul_i32 s27, s27, s35
	;; [unrolled: 2-line block ×3, first 2 shown]
	s_and_b32 s4, s2, 0x3ffffff
	s_lshr_b64 s[2:3], s[2:3], 26
	s_add_u32 s27, s29, s27
	s_mul_i32 s23, s42, s31
	s_mul_hi_u32 s31, s30, s38
	s_mul_i32 s30, s30, s38
	s_addc_u32 s24, s28, s24
	s_add_u32 s27, s27, s30
	s_mul_i32 s34, s34, s6
	s_addc_u32 s24, s24, s31
	s_add_u32 s27, s27, s34
	s_mul_hi_u32 s6, s36, s40
	s_mul_i32 s36, s36, s40
	s_addc_u32 s7, s24, s7
	s_add_u32 s24, s27, s36
	s_mul_hi_u32 s35, s39, s41
	s_mul_i32 s39, s39, s41
	s_addc_u32 s6, s7, s6
	s_add_u32 s7, s24, s39
	s_addc_u32 s6, s6, s35
	s_add_u32 s7, s7, s20
	;; [unrolled: 2-line block ×5, first 2 shown]
	s_mul_i32 s37, s4, 0x3d10
	s_addc_u32 s6, s6, s53
	s_mul_hi_u32 s26, s4, 0x3d10
	s_add_u32 s7, s7, s37
	s_addc_u32 s6, s6, s26
	s_add_u32 s26, s7, s48
	s_addc_u32 s27, s6, s49
	s_lshr_b64 s[6:7], s[26:27], 26
	s_lshl_b64 s[24:25], s[4:5], 10
	s_mul_i32 s19, s2, 0x3d10
	s_mul_hi_u32 s4, s2, 0x3d10
	s_add_u32 s18, s19, s18
	s_addc_u32 s4, s4, 0
	s_add_u32 s18, s18, s24
	s_addc_u32 s4, s4, s25
	;; [unrolled: 2-line block ×3, first 2 shown]
	s_lshr_b64 s[6:7], s[28:29], 22
	s_lshl_b64 s[2:3], s[2:3], 14
	s_add_u32 s2, s6, s2
	s_addc_u32 s3, s7, s3
	s_mul_i32 s4, s3, 0x3d1
	s_mul_hi_u32 s6, s2, 0x3d1
	s_add_i32 s4, s6, s4
	s_mul_i32 s6, s2, 0x3d1
	s_add_u32 s6, s6, s44
	s_addc_u32 s7, s4, 0
	s_lshr_b64 s[24:25], s[6:7], 26
	s_lshl_b64 s[2:3], s[2:3], 6
	s_add_u32 s2, s2, s45
	s_addc_u32 s3, s3, 0
	s_add_u32 s24, s2, s24
	s_addc_u32 s25, s3, s25
	s_lshr_b64 s[2:3], s[24:25], 26
	s_add_u32 s0, s2, s46
	s_mov_b32 s2, s8
	s_addc_u32 s1, s3, 0
	v_writelane_b32 v15, s2, 38
	v_writelane_b32 v15, s3, 39
	s_mov_b32 s2, s10
	s_mov_b32 s18, 22
	s_mov_b64 s[48:49], s[6:7]
	s_mov_b64 s[46:47], s[24:25]
	;; [unrolled: 1-line block ×4, first 2 shown]
	v_writelane_b32 v15, s2, 40
	s_mov_b64 s[30:31], s[10:11]
	s_mov_b64 s[40:41], s[12:13]
	;; [unrolled: 1-line block ×6, first 2 shown]
	v_writelane_b32 v15, s3, 41
.LBB0_11:                               ; =>This Inner Loop Header: Depth=1
	s_lshl_b32 s27, s34, 1
	s_lshl_b32 s29, s30, 1
	;; [unrolled: 1-line block ×4, first 2 shown]
	s_and_b32 s15, s38, 0x3ffffff
	s_and_b32 s4, s40, 0x3ffffff
	;; [unrolled: 1-line block ×6, first 2 shown]
	s_lshl_b32 s11, s42, 1
	s_and_b32 s13, s36, 0x3ffffff
	s_and_b32 s47, s17, 0x7fffffe
	;; [unrolled: 1-line block ×3, first 2 shown]
	s_mul_i32 s49, s15, s41
	s_mul_i32 s71, s29, s4
	s_mul_hi_u32 s50, s15, s41
	s_mul_hi_u32 s60, s29, s4
	;; [unrolled: 1-line block ×3, first 2 shown]
	s_mul_i32 s79, s15, s29
	s_mul_hi_u32 s86, s13, s29
	s_mul_i32 s87, s13, s29
	s_mul_hi_u32 s93, s9, s29
	;; [unrolled: 2-line block ×3, first 2 shown]
	s_mul_i32 s10, s7, s29
	s_add_u32 s29, s49, s71
	s_mul_i32 s51, s13, s11
	s_addc_u32 s60, s50, s60
	s_mul_hi_u32 s53, s13, s11
	s_add_u32 s29, s29, s51
	s_mul_i32 s54, s9, s45
	s_addc_u32 s71, s60, s53
	s_mul_hi_u32 s23, s9, s45
	s_add_u32 s29, s29, s54
	s_mul_hi_u32 s66, s4, s4
	s_mul_i32 s67, s4, s4
	s_mul_hi_u32 s84, s4, s11
	s_mul_i32 s85, s4, s11
	s_mul_i32 s22, s7, s47
	s_mul_hi_u32 s69, s4, s47
	s_mul_i32 s70, s4, s47
	s_mul_hi_u32 s63, s4, s45
	;; [unrolled: 2-line block ×3, first 2 shown]
	s_mul_i32 s60, s4, s41
	s_addc_u32 s4, s71, s23
	s_mul_hi_u32 s20, s7, s47
	s_add_u32 s72, s29, s22
	s_addc_u32 s73, s4, s20
	s_and_b32 s29, s72, 0x3fffffe
	s_and_b32 s4, s48, 0x3ffffff
	s_lshr_b64 s[72:73], s[72:73], 26
	s_mul_hi_u32 s20, s4, s4
	s_mul_i32 s22, s4, s4
	s_add_u32 s4, s79, s67
	s_mul_i32 s77, s13, s41
	s_addc_u32 s23, s78, s66
	s_mul_hi_u32 s76, s13, s41
	s_add_u32 s4, s4, s77
	s_mul_i32 s57, s9, s11
	s_addc_u32 s23, s23, s76
	s_mul_hi_u32 s27, s9, s11
	;; [unrolled: 4-line block ×3, first 2 shown]
	s_add_u32 s4, s4, s75
	s_addc_u32 s23, s23, s74
	s_add_u32 s66, s4, s72
	s_addc_u32 s67, s23, s73
	s_and_b32 s4, s66, 0x3ffffff
	s_lshr_b64 s[66:67], s[66:67], 26
	s_mul_i32 s27, s4, 0x3d10
	s_mul_hi_u32 s23, s4, 0x3d10
	s_add_u32 s72, s27, s22
	s_addc_u32 s73, s23, s20
	s_lshl_b32 s20, s40, 1
	s_lshl_b64 s[74:75], s[4:5], 10
	s_and_b32 s4, s46, 0x3ffffff
	s_and_b32 s20, s20, 0x7fffffe
	s_mul_i32 s37, s42, s43
	s_mul_hi_u32 s39, s42, s42
	s_mul_i32 s31, s42, s42
	s_mul_hi_u32 s35, s15, s15
	;; [unrolled: 2-line block ×3, first 2 shown]
	s_mul_i32 s25, s15, s11
	s_mul_i32 s88, s47, s43
	s_mul_hi_u32 s89, s47, s42
	s_mul_i32 s90, s47, s42
	s_mul_i32 s95, s45, s43
	s_mul_hi_u32 vcc_lo, s45, s42
	s_mul_i32 vcc_hi, s45, s42
	s_mul_hi_u32 s56, s15, s47
	s_mul_i32 s58, s15, s47
	s_mul_hi_u32 s42, s15, s45
	s_mul_i32 s43, s15, s45
	s_and_b32 s27, s72, 0x3fffffd
	s_lshr_b64 s[72:73], s[72:73], 26
	s_mul_hi_u32 s22, s47, s4
	s_mul_i32 s23, s47, s4
	s_mul_hi_u32 s40, s4, s4
	s_mul_i32 s46, s4, s4
	;; [unrolled: 2-line block ×3, first 2 shown]
	s_add_u32 s15, s87, s15
	s_mul_i32 s81, s9, s41
	s_addc_u32 s4, s86, s4
	s_mul_hi_u32 s80, s9, s41
	s_add_u32 s15, s15, s81
	s_mul_i32 s65, s7, s11
	s_addc_u32 s4, s4, s80
	s_mul_hi_u32 s64, s7, s11
	s_add_u32 s15, s15, s65
	s_addc_u32 s4, s4, s64
	s_add_u32 s64, s15, s66
	s_addc_u32 s65, s4, s67
	s_and_b32 s4, s64, 0x3ffffff
	s_lshr_b64 s[64:65], s[64:65], 26
	s_add_u32 s23, s74, s23
	s_addc_u32 s22, s75, s22
	s_add_u32 s23, s23, s72
	s_mul_i32 s66, s4, 0x3d10
	s_addc_u32 s22, s22, s73
	s_mul_hi_u32 s15, s4, 0x3d10
	s_add_u32 s66, s23, s66
	s_addc_u32 s67, s22, s15
	s_mul_i32 s57, s13, s20
	s_and_b32 s15, s66, 0x3ffffff
	s_lshl_b64 s[72:73], s[4:5], 10
	s_add_i32 s89, s89, s88
	s_lshr_b64 s[66:67], s[66:67], 26
	s_mul_hi_u32 s48, s13, s20
	s_add_u32 s4, s57, s52
	s_addc_u32 s22, s48, s35
	s_add_u32 s4, s4, s94
	s_mul_i32 s92, s7, s41
	s_addc_u32 s22, s22, s93
	s_mul_hi_u32 s91, s7, s41
	s_add_u32 s4, s4, s92
	s_addc_u32 s22, s22, s91
	s_add_u32 s64, s4, s64
	s_addc_u32 s65, s22, s65
	s_and_b32 s4, s64, 0x3ffffff
	s_lshr_b64 s[64:65], s[64:65], 26
	s_add_u32 s35, s90, s46
	s_addc_u32 s40, s89, s40
	s_add_u32 s35, s35, s72
	s_mul_i32 s23, s4, 0x3d10
	s_addc_u32 s40, s40, s73
	s_mul_hi_u32 s22, s4, 0x3d10
	s_add_u32 s23, s35, s23
	s_addc_u32 s22, s40, s22
	s_add_u32 s66, s23, s66
	s_addc_u32 s67, s22, s67
	s_lshl_b32 s22, s38, 1
	s_lshl_b64 s[72:73], s[4:5], 10
	s_and_b32 s4, s34, 0x3ffffff
	s_and_b32 s22, s22, 0x7fffffe
	s_mul_hi_u32 s61, s13, s13
	s_mul_i32 s62, s13, s13
	s_mul_hi_u32 s19, s13, s47
	s_mul_i32 s21, s13, s47
	;; [unrolled: 2-line block ×3, first 2 shown]
	s_mul_i32 s76, s9, s20
	s_and_b32 s52, s66, 0x3ffffff
	s_add_i32 vcc_lo, vcc_lo, s95
	s_lshr_b64 s[34:35], s[66:67], 26
	s_mul_hi_u32 s23, s4, s47
	s_mul_i32 s38, s4, s47
	s_mul_hi_u32 s46, s4, s45
	s_mul_i32 s48, s4, s45
	;; [unrolled: 2-line block ×5, first 2 shown]
	s_mul_hi_u32 s71, s9, s20
	s_add_u32 s13, s76, s13
	s_addc_u32 s4, s71, s4
	s_add_u32 s10, s13, s10
	s_addc_u32 s4, s4, s8
	s_add_u32 s64, s10, s64
	s_addc_u32 s65, s4, s65
	s_and_b32 s4, s64, 0x3ffffff
	s_lshr_b64 s[64:65], s[64:65], 26
	s_add_u32 s13, s38, vcc_hi
	s_addc_u32 s23, s23, vcc_lo
	s_add_u32 s13, s13, s72
	s_mul_i32 s10, s4, 0x3d10
	s_addc_u32 s23, s23, s73
	s_mul_hi_u32 s8, s4, 0x3d10
	s_add_u32 s10, s13, s10
	s_addc_u32 s8, s23, s8
	s_add_u32 s34, s10, s34
	s_addc_u32 s35, s8, s35
	s_lshl_b64 s[66:67], s[4:5], 10
	s_add_i32 s4, s39, s37
	s_mul_i32 s79, s9, s22
	s_and_b32 s13, s30, 0x3ffffff
	s_lshr_b64 s[38:39], s[34:35], 26
	s_add_i32 s23, s4, s37
	s_mul_hi_u32 s40, s9, s22
	s_add_u32 s4, s79, s62
	s_mul_hi_u32 s77, s7, s20
	s_mul_i32 s20, s7, s20
	s_addc_u32 s30, s40, s61
	s_add_u32 s4, s4, s20
	s_addc_u32 s20, s30, s77
	s_add_u32 s40, s4, s64
	s_mul_hi_u32 s73, s41, s13
	s_mul_i32 s76, s41, s13
	s_addc_u32 s41, s20, s65
	s_and_b32 s4, s40, 0x3ffffff
	s_lshr_b64 s[40:41], s[40:41], 26
	s_add_u32 s31, s48, s31
	s_mul_i32 s10, s13, s47
	s_addc_u32 s23, s46, s23
	s_mul_hi_u32 s8, s13, s47
	s_add_u32 s10, s31, s10
	s_addc_u32 s8, s23, s8
	s_add_u32 s10, s10, s66
	s_mul_i32 s30, s4, 0x3d10
	s_addc_u32 s8, s8, s67
	s_mul_hi_u32 s20, s4, 0x3d10
	s_add_u32 s10, s10, s30
	s_addc_u32 s8, s8, s20
	s_add_u32 s30, s10, s38
	s_addc_u32 s31, s8, s39
	s_lshl_b64 s[38:39], s[4:5], 10
	s_lshl_b32 s4, s36, 1
	s_and_b32 s4, s4, 0x7fffffe
	s_mul_hi_u32 s82, s9, s9
	s_mul_i32 s83, s9, s9
	s_mul_hi_u32 s49, s9, s47
	s_mul_i32 s50, s9, s47
	;; [unrolled: 2-line block ×3, first 2 shown]
	s_lshr_b64 s[36:37], s[30:31], 26
	s_mul_hi_u32 s8, s4, s9
	s_mul_i32 s9, s4, s9
	s_mul_hi_u32 s10, s7, s4
	s_mul_i32 s20, s7, s4
	s_add_u32 s4, s22, s9
	s_addc_u32 s8, s80, s8
	s_add_u32 s40, s4, s40
	s_addc_u32 s41, s8, s41
	s_mul_hi_u32 s35, s13, s45
	s_mul_i32 s45, s13, s45
	s_and_b32 s4, s40, 0x3ffffff
	s_lshr_b64 s[46:47], s[40:41], 26
	s_add_u32 s22, s45, s74
	s_addc_u32 s23, s35, s57
	s_add_u32 s22, s22, s70
	s_addc_u32 s23, s23, s69
	s_add_u32 s22, s22, s38
	s_mul_i32 s9, s4, 0x3d10
	s_addc_u32 s23, s23, s39
	s_mul_hi_u32 s8, s4, 0x3d10
	s_add_u32 s9, s22, s9
	s_addc_u32 s8, s23, s8
	s_add_u32 s40, s9, s36
	s_addc_u32 s41, s8, s37
	s_lshl_b64 s[36:37], s[4:5], 10
	s_lshr_b64 s[38:39], s[40:41], 26
	s_add_u32 s4, s20, s83
	s_addc_u32 s8, s10, s82
	s_add_u32 s46, s4, s46
	s_addc_u32 s47, s8, s47
	s_mul_i32 s72, s13, s11
	s_and_b32 s4, s46, 0x3ffffff
	s_lshr_b64 s[46:47], s[46:47], 26
	s_mul_hi_u32 s71, s13, s11
	s_add_u32 s10, s72, s78
	s_addc_u32 s20, s71, s75
	s_add_u32 s10, s10, s68
	s_addc_u32 s20, s20, s63
	;; [unrolled: 2-line block ×3, first 2 shown]
	s_add_u32 s10, s10, s36
	s_mul_i32 s9, s4, 0x3d10
	s_addc_u32 s20, s20, s37
	s_mul_hi_u32 s8, s4, 0x3d10
	s_add_u32 s9, s10, s9
	s_addc_u32 s8, s20, s8
	s_add_u32 s38, s9, s38
	s_addc_u32 s39, s8, s39
	s_lshl_b64 s[36:37], s[4:5], 10
	s_lshl_b32 s4, s44, 1
	s_and_b32 s4, s4, 0x7fffffe
	s_lshr_b64 s[44:45], s[38:39], 26
	s_mul_hi_u32 s8, s4, s7
	s_mul_i32 s4, s4, s7
	s_add_u32 s46, s46, s4
	s_addc_u32 s47, s47, s8
	s_and_b32 s4, s46, 0x3ffffff
	s_lshr_b64 s[46:47], s[46:47], 26
	s_add_u32 s9, s85, s76
	s_addc_u32 s10, s84, s73
	s_add_u32 s9, s9, s43
	s_addc_u32 s10, s10, s42
	;; [unrolled: 2-line block ×3, first 2 shown]
	s_add_u32 s9, s9, s36
	s_mul_i32 s8, s4, 0x3d10
	s_addc_u32 s10, s10, s37
	s_mul_hi_u32 s55, s7, s7
	s_mul_i32 s59, s7, s7
	s_mul_hi_u32 s7, s4, 0x3d10
	s_add_u32 s8, s9, s8
	s_addc_u32 s7, s10, s7
	s_add_u32 s36, s8, s44
	s_addc_u32 s37, s7, s45
	s_lshl_b64 s[44:45], s[4:5], 10
	s_lshr_b64 s[42:43], s[36:37], 26
	s_add_u32 s46, s46, s59
	s_addc_u32 s47, s47, s55
	s_mul_hi_u32 s11, s13, s13
	s_mul_i32 s13, s13, s13
	s_and_b32 s4, s46, 0x3ffffff
	s_lshr_b64 s[46:47], s[46:47], 26
	s_add_u32 s9, s60, s13
	s_addc_u32 s11, s54, s11
	s_add_u32 s9, s9, s25
	s_addc_u32 s11, s11, s17
	;; [unrolled: 2-line block ×4, first 2 shown]
	s_add_u32 s9, s9, s44
	s_mul_i32 s8, s4, 0x3d10
	s_addc_u32 s11, s11, s45
	s_mul_hi_u32 s7, s4, 0x3d10
	s_add_u32 s8, s9, s8
	s_addc_u32 s7, s11, s7
	s_add_u32 s44, s8, s42
	s_addc_u32 s45, s7, s43
	s_mul_i32 s13, s46, 0x3d10
	s_lshl_b64 s[42:43], s[4:5], 10
	s_lshr_b64 s[48:49], s[44:45], 26
	s_mul_hi_u32 s10, s46, 0x3d10
	s_add_u32 s4, s13, s29
	s_addc_u32 s7, s10, 0
	s_add_u32 s4, s4, s42
	s_addc_u32 s7, s7, s43
	;; [unrolled: 2-line block ×3, first 2 shown]
	s_lshl_b64 s[42:43], s[46:47], 14
	s_lshr_b64 s[46:47], s[50:51], 22
	s_add_u32 s42, s46, s42
	s_addc_u32 s43, s47, s43
	s_mul_hi_u32 s4, s42, 0x3d1
	s_mul_i32 s8, s43, 0x3d1
	s_mul_i32 s7, s42, 0x3d1
	s_add_i32 s4, s4, s8
	s_add_u32 s48, s7, s27
	s_addc_u32 s49, s4, 0
	s_lshl_b64 s[42:43], s[42:43], 6
	s_lshr_b64 s[46:47], s[48:49], 26
	s_add_u32 s4, s42, s15
	s_addc_u32 s7, s43, 0
	s_add_u32 s46, s4, s46
	s_addc_u32 s47, s7, s47
	s_lshr_b64 s[42:43], s[46:47], 26
	s_add_u32 s42, s42, s52
	s_addc_u32 s43, s43, 0
	s_add_i32 s18, s18, -1
	s_cmp_lg_u32 s18, 0
	s_cbranch_scc1 .LBB0_11
; %bb.12:
	v_readlane_b32 s22, v15, 38
	s_and_b32 s2, s28, 0x3fffff
	s_and_b32 s56, s16, 0x3ffffff
	v_readlane_b32 s23, v15, 39
	s_and_b32 s28, s36, 0x3ffffff
	s_mul_i32 s13, s43, s56
	s_mul_hi_u32 s15, s42, s56
	s_and_b32 s18, s34, 0x3ffffff
	s_and_b32 s57, s14, 0x3ffffff
	;; [unrolled: 1-line block ×4, first 2 shown]
	v_readlane_b32 s20, v15, 40
	s_mul_i32 s23, s28, s1
	s_mul_hi_u32 s29, s28, s0
	s_and_b32 s4, s48, 0x3ffffff
	s_and_b32 s5, s46, 0x3ffffff
	;; [unrolled: 1-line block ×3, first 2 shown]
	s_add_i32 s15, s15, s13
	s_mul_i32 s16, s18, s57
	s_mul_i32 s17, s25, s58
	s_and_b32 s26, s40, 0x3ffffff
	s_and_b32 s59, s20, 0x3ffffff
	s_and_b32 s27, s38, 0x3ffffff
	s_and_b32 s60, s22, 0x3ffffff
	s_add_i32 s23, s29, s23
	s_and_b32 s29, s44, 0x3ffffff
	s_and_b32 s61, s24, 0x3ffffff
	;; [unrolled: 1-line block ×4, first 2 shown]
	s_mul_hi_u32 s14, s18, s57
	s_mul_hi_u32 s12, s25, s58
	s_add_u32 s16, s17, s16
	s_mul_i32 s20, s26, s59
	s_addc_u32 s12, s12, s14
	s_mul_hi_u32 s19, s26, s59
	s_add_u32 s14, s16, s20
	v_readlane_b32 s21, v15, 41
	s_mul_i32 s22, s27, s60
	s_addc_u32 s12, s12, s19
	s_mul_hi_u32 s21, s27, s60
	s_add_u32 s14, s14, s22
	s_mul_i32 s31, s28, s0
	s_addc_u32 s12, s12, s21
	s_add_u32 s14, s14, s31
	s_mul_i32 s34, s29, s61
	s_addc_u32 s12, s12, s23
	s_mul_hi_u32 s24, s29, s61
	s_add_u32 s14, s14, s34
	s_mul_i32 s35, s30, s62
	s_addc_u32 s12, s12, s24
	s_mul_hi_u32 s6, s30, s62
	;; [unrolled: 4-line block ×4, first 2 shown]
	s_add_u32 s8, s9, s11
	s_mul_i32 s13, s42, s56
	s_addc_u32 s6, s6, s10
	s_add_u32 s8, s8, s13
	s_addc_u32 s9, s6, s15
	s_mul_i32 s13, s43, s3
	s_mul_hi_u32 s14, s42, s3
	s_mul_i32 s35, s29, s1
	s_mul_hi_u32 s36, s29, s0
	s_and_b32 s24, s8, 0x3ffffff
	s_lshr_b64 s[8:9], s[8:9], 26
	s_add_i32 s14, s14, s13
	s_mul_i32 s16, s18, s56
	s_mul_i32 s19, s25, s57
	s_add_i32 s36, s36, s35
	s_mul_hi_u32 s15, s18, s56
	s_mul_hi_u32 s17, s25, s57
	s_add_u32 s16, s19, s16
	s_mul_i32 s21, s26, s58
	s_addc_u32 s15, s17, s15
	s_mul_hi_u32 s20, s26, s58
	s_add_u32 s16, s16, s21
	s_mul_i32 s23, s27, s59
	s_addc_u32 s15, s15, s20
	;; [unrolled: 4-line block ×4, first 2 shown]
	s_add_u32 s16, s16, s35
	s_mul_i32 s38, s30, s61
	s_addc_u32 s15, s15, s36
	s_mul_hi_u32 s37, s30, s61
	s_add_u32 s16, s16, s38
	s_mul_i32 s12, s5, s2
	s_addc_u32 s15, s15, s37
	s_mul_hi_u32 s6, s5, s2
	s_add_u32 s12, s16, s12
	s_mul_i32 s13, s42, s3
	s_addc_u32 s6, s15, s6
	s_add_u32 s12, s12, s13
	s_addc_u32 s6, s6, s14
	s_add_u32 s8, s12, s8
	s_addc_u32 s9, s6, s9
	s_and_b32 s6, s8, 0x3ffffff
	s_mul_i32 s10, s4, s62
	s_lshr_b64 s[8:9], s[8:9], 26
	s_mul_i32 s13, s6, 0x3d10
	s_mov_b32 s7, 0
	s_mul_hi_u32 s11, s4, s62
	s_mul_hi_u32 s12, s6, 0x3d10
	s_add_u32 s10, s13, s10
	s_addc_u32 s11, s12, s11
	s_lshl_b64 s[12:13], s[6:7], 10
	s_mul_i32 s6, s43, s2
	s_mul_hi_u32 s19, s42, s2
	s_mul_i32 s44, s30, s1
	s_mul_hi_u32 s45, s30, s0
	s_and_b32 s34, s10, 0x3ffffff
	s_lshr_b64 s[10:11], s[10:11], 26
	s_add_i32 s19, s19, s6
	s_mul_i32 s21, s18, s3
	s_mul_i32 s23, s25, s56
	s_add_i32 s45, s45, s44
	s_mul_hi_u32 s20, s18, s3
	s_mul_hi_u32 s22, s25, s56
	s_add_u32 s21, s23, s21
	s_mul_i32 s35, s26, s57
	s_addc_u32 s20, s22, s20
	s_mul_hi_u32 s31, s26, s57
	s_add_u32 s21, s21, s35
	s_mul_i32 s37, s27, s58
	s_addc_u32 s20, s20, s31
	;; [unrolled: 4-line block ×5, first 2 shown]
	s_add_u32 s21, s21, s44
	s_mul_i32 s6, s42, s2
	s_addc_u32 s20, s20, s45
	s_add_u32 s6, s21, s6
	s_addc_u32 s19, s20, s19
	s_add_u32 s8, s6, s8
	s_addc_u32 s9, s19, s9
	s_mul_i32 s15, s4, s61
	s_mul_i32 s17, s5, s62
	s_and_b32 s6, s8, 0x3ffffff
	s_lshr_b64 s[8:9], s[8:9], 26
	s_mul_hi_u32 s14, s4, s61
	s_mul_hi_u32 s16, s5, s62
	s_add_u32 s15, s17, s15
	s_addc_u32 s14, s16, s14
	s_add_u32 s12, s15, s12
	s_addc_u32 s13, s14, s13
	s_add_u32 s10, s12, s10
	s_mul_i32 s20, s6, 0x3d10
	s_addc_u32 s11, s13, s11
	s_mul_hi_u32 s19, s6, 0x3d10
	s_add_u32 s10, s10, s20
	s_addc_u32 s11, s11, s19
	s_lshl_b64 s[12:13], s[6:7], 10
	s_mul_i32 s6, s4, s1
	s_mul_hi_u32 s14, s4, s0
	s_add_i32 s14, s14, s6
	s_mul_i32 s6, s43, s62
	s_mul_hi_u32 s19, s42, s62
	s_and_b32 s35, s10, 0x3ffffff
	s_lshr_b64 s[10:11], s[10:11], 26
	s_add_i32 s19, s19, s6
	s_mul_i32 s21, s18, s2
	s_mul_i32 s23, s25, s3
	s_mul_hi_u32 s6, s18, s2
	s_mul_hi_u32 s22, s25, s3
	s_add_u32 s21, s23, s21
	s_mul_i32 s36, s26, s56
	s_addc_u32 s6, s22, s6
	s_mul_hi_u32 s31, s26, s56
	s_add_u32 s21, s21, s36
	s_mul_i32 s38, s27, s57
	s_addc_u32 s6, s6, s31
	s_mul_hi_u32 s37, s27, s57
	s_add_u32 s21, s21, s38
	s_mul_i32 s40, s28, s58
	s_addc_u32 s6, s6, s37
	s_mul_hi_u32 s39, s28, s58
	s_add_u32 s21, s21, s40
	s_mul_i32 s44, s29, s59
	s_addc_u32 s6, s6, s39
	s_mul_hi_u32 s41, s29, s59
	s_add_u32 s21, s21, s44
	s_mul_i32 s46, s30, s60
	s_addc_u32 s6, s6, s41
	s_mul_hi_u32 s45, s30, s60
	s_add_u32 s21, s21, s46
	s_addc_u32 s6, s6, s45
	s_add_u32 s8, s21, s8
	s_addc_u32 s9, s6, s9
	s_mul_i32 s15, s4, s0
	s_mul_i32 s17, s5, s61
	s_and_b32 s6, s8, 0x3ffffff
	s_lshr_b64 s[8:9], s[8:9], 26
	s_mul_hi_u32 s16, s5, s61
	s_add_u32 s15, s17, s15
	s_mul_i32 s20, s42, s62
	s_addc_u32 s14, s16, s14
	s_add_u32 s15, s15, s20
	s_addc_u32 s14, s14, s19
	s_add_u32 s12, s15, s12
	s_mul_i32 s22, s6, 0x3d10
	s_addc_u32 s13, s14, s13
	s_mul_hi_u32 s21, s6, 0x3d10
	s_add_u32 s12, s12, s22
	s_addc_u32 s13, s13, s21
	s_add_u32 s10, s12, s10
	s_addc_u32 s11, s13, s11
	s_lshl_b64 s[12:13], s[6:7], 10
	s_mul_i32 s6, s5, s1
	s_mul_hi_u32 s14, s5, s0
	s_add_i32 s19, s14, s6
	s_mul_i32 s6, s43, s61
	s_mul_hi_u32 s14, s42, s61
	s_and_b32 s36, s10, 0x3ffffff
	s_lshr_b64 s[10:11], s[10:11], 26
	s_add_i32 s21, s14, s6
	s_mul_i32 s14, s25, s2
	s_mul_i32 s37, s26, s3
	s_mul_hi_u32 s6, s25, s2
	s_mul_hi_u32 s15, s26, s3
	s_add_u32 s14, s37, s14
	s_mul_i32 s39, s27, s56
	s_addc_u32 s6, s15, s6
	s_mul_hi_u32 s38, s27, s56
	s_add_u32 s14, s14, s39
	s_mul_i32 s41, s28, s57
	s_addc_u32 s6, s6, s38
	;; [unrolled: 4-line block ×4, first 2 shown]
	s_mul_hi_u32 s46, s30, s59
	s_add_u32 s14, s14, s47
	s_addc_u32 s6, s6, s46
	s_add_u32 s8, s14, s8
	s_addc_u32 s9, s6, s9
	s_mul_i32 s17, s4, s60
	s_mul_i32 s31, s18, s62
	s_and_b32 s6, s8, 0x3ffffff
	s_lshr_b64 s[14:15], s[8:9], 26
	s_mul_hi_u32 s16, s4, s60
	s_mul_hi_u32 s23, s18, s62
	s_add_u32 s17, s17, s31
	s_mul_i32 s20, s5, s0
	s_addc_u32 s16, s16, s23
	s_add_u32 s17, s17, s20
	s_mul_i32 s22, s42, s61
	s_addc_u32 s16, s16, s19
	s_add_u32 s17, s17, s22
	s_addc_u32 s16, s16, s21
	s_add_u32 s12, s17, s12
	s_mul_i32 s9, s6, 0x3d10
	s_addc_u32 s13, s16, s13
	s_mul_hi_u32 s8, s6, 0x3d10
	s_add_u32 s9, s12, s9
	s_addc_u32 s12, s13, s8
	s_add_u32 s86, s9, s10
	s_addc_u32 s87, s12, s11
	s_lshl_b64 s[12:13], s[6:7], 10
	s_mul_i32 s6, s42, s1
	s_mul_hi_u32 s21, s42, s0
	s_add_i32 s6, s21, s6
	s_mul_i32 s21, s43, s0
	s_lshr_b64 s[10:11], s[86:87], 26
	s_add_i32 s21, s6, s21
	s_mul_i32 s39, s26, s2
	s_mul_i32 s41, s27, s3
	s_mul_hi_u32 s6, s26, s2
	s_mul_hi_u32 s40, s27, s3
	s_add_u32 s39, s41, s39
	s_mul_i32 s45, s28, s56
	s_addc_u32 s6, s40, s6
	s_mul_hi_u32 s44, s28, s56
	s_add_u32 s39, s39, s45
	s_mul_i32 s47, s29, s57
	s_addc_u32 s6, s6, s44
	;; [unrolled: 4-line block ×3, first 2 shown]
	s_mul_hi_u32 s48, s30, s58
	s_add_u32 s39, s39, s49
	s_addc_u32 s6, s6, s48
	s_add_u32 s14, s39, s14
	s_addc_u32 s15, s6, s15
	s_mul_i32 s31, s18, s61
	s_mul_i32 s38, s25, s62
	s_and_b32 s6, s14, 0x3ffffff
	s_lshr_b64 s[14:15], s[14:15], 26
	s_mul_hi_u32 s23, s18, s61
	s_mul_hi_u32 s37, s25, s62
	s_add_u32 s31, s38, s31
	s_mul_i32 s17, s4, s59
	s_addc_u32 s23, s37, s23
	s_mul_hi_u32 s16, s4, s59
	s_add_u32 s17, s31, s17
	s_mul_i32 s20, s5, s60
	s_addc_u32 s16, s23, s16
	;; [unrolled: 4-line block ×3, first 2 shown]
	s_add_u32 s17, s17, s22
	s_addc_u32 s16, s16, s21
	s_add_u32 s12, s17, s12
	s_mul_i32 s40, s6, 0x3d10
	s_addc_u32 s13, s16, s13
	s_mul_hi_u32 s39, s6, 0x3d10
	s_add_u32 s12, s12, s40
	s_addc_u32 s13, s13, s39
	s_add_u32 s88, s12, s10
	s_addc_u32 s89, s13, s11
	s_lshl_b64 s[16:17], s[6:7], 10
	s_mul_i32 s6, s43, s60
	s_mul_hi_u32 s23, s42, s60
	s_add_i32 s23, s23, s6
	s_mul_i32 s6, s18, s1
	s_mul_hi_u32 s37, s18, s0
	s_lshr_b64 s[12:13], s[88:89], 26
	s_add_i32 s37, s37, s6
	s_mul_i32 s45, s27, s2
	s_mul_i32 s47, s28, s3
	s_mul_hi_u32 s6, s27, s2
	s_mul_hi_u32 s46, s28, s3
	s_add_u32 s45, s47, s45
	s_mul_i32 s49, s29, s56
	s_addc_u32 s6, s46, s6
	s_mul_hi_u32 s48, s29, s56
	s_add_u32 s45, s45, s49
	s_mul_i32 s51, s30, s57
	s_addc_u32 s6, s6, s48
	s_mul_hi_u32 s50, s30, s57
	s_add_u32 s45, s45, s51
	s_addc_u32 s6, s6, s50
	s_add_u32 s14, s45, s14
	s_addc_u32 s15, s6, s15
	s_mul_i32 s38, s18, s0
	s_mul_i32 s40, s25, s61
	s_and_b32 s6, s14, 0x3ffffff
	s_lshr_b64 s[14:15], s[14:15], 26
	s_mul_hi_u32 s39, s25, s61
	s_add_u32 s38, s40, s38
	s_mul_i32 s44, s26, s62
	s_addc_u32 s37, s39, s37
	s_mul_hi_u32 s41, s26, s62
	s_add_u32 s38, s38, s44
	s_mul_i32 s20, s4, s58
	s_addc_u32 s37, s37, s41
	;; [unrolled: 4-line block ×4, first 2 shown]
	s_add_u32 s20, s20, s31
	s_addc_u32 s19, s19, s23
	s_add_u32 s16, s20, s16
	s_mul_i32 s46, s6, 0x3d10
	s_addc_u32 s17, s19, s17
	s_mul_hi_u32 s45, s6, 0x3d10
	s_add_u32 s16, s16, s46
	s_addc_u32 s17, s17, s45
	s_add_u32 s90, s16, s12
	s_addc_u32 s91, s17, s13
	s_lshl_b64 s[38:39], s[6:7], 10
	s_mul_i32 s6, s43, s59
	s_mul_hi_u32 s23, s42, s59
	s_add_i32 s23, s23, s6
	s_mul_i32 s6, s25, s1
	s_mul_hi_u32 s40, s25, s0
	s_lshr_b64 s[16:17], s[90:91], 26
	s_add_i32 s45, s40, s6
	s_mul_i32 s40, s28, s2
	s_mul_i32 s51, s29, s3
	s_mul_hi_u32 s6, s28, s2
	s_mul_hi_u32 s41, s29, s3
	s_add_u32 s40, s51, s40
	s_mul_i32 s53, s30, s56
	s_addc_u32 s6, s41, s6
	s_mul_hi_u32 s52, s30, s56
	s_add_u32 s40, s40, s53
	s_addc_u32 s6, s6, s52
	s_add_u32 s14, s40, s14
	s_addc_u32 s15, s6, s15
	s_mul_i32 s44, s18, s60
	s_mul_i32 s46, s25, s0
	s_and_b32 s6, s14, 0x3ffffff
	s_lshr_b64 s[40:41], s[14:15], 26
	s_mul_hi_u32 s37, s18, s60
	s_add_u32 s44, s46, s44
	s_mul_i32 s48, s26, s61
	s_addc_u32 s37, s45, s37
	s_mul_hi_u32 s47, s26, s61
	s_add_u32 s44, s44, s48
	s_mul_i32 s50, s27, s62
	s_addc_u32 s37, s37, s47
	;; [unrolled: 4-line block ×5, first 2 shown]
	s_add_u32 s20, s20, s31
	s_addc_u32 s19, s19, s23
	s_add_u32 s20, s20, s38
	s_mul_i32 s15, s6, 0x3d10
	s_addc_u32 s19, s19, s39
	s_mul_hi_u32 s14, s6, 0x3d10
	s_add_u32 s15, s20, s15
	s_addc_u32 s19, s19, s14
	s_add_u32 s8, s15, s16
	s_addc_u32 s9, s19, s17
	s_lshl_b64 s[38:39], s[6:7], 10
	s_mul_i32 s6, s43, s58
	s_mul_hi_u32 s23, s42, s58
	s_add_i32 s23, s23, s6
	s_mul_i32 s6, s26, s1
	s_mul_hi_u32 s47, s26, s0
	s_lshr_b64 s[16:17], s[8:9], 26
	s_add_i32 s47, s47, s6
	s_mul_i32 s53, s29, s2
	s_mul_i32 s55, s30, s3
	s_mul_hi_u32 s6, s29, s2
	s_mul_hi_u32 s54, s30, s3
	s_add_u32 s53, s55, s53
	s_addc_u32 s6, s54, s6
	s_add_u32 s40, s53, s40
	s_addc_u32 s41, s6, s41
	s_mul_i32 s44, s18, s59
	s_mul_i32 s46, s25, s60
	s_and_b32 s6, s40, 0x3ffffff
	s_lshr_b64 s[40:41], s[40:41], 26
	s_mul_hi_u32 s37, s18, s59
	s_mul_hi_u32 s45, s25, s60
	s_add_u32 s44, s46, s44
	s_mul_i32 s48, s26, s0
	s_addc_u32 s37, s45, s37
	s_add_u32 s44, s44, s48
	s_mul_i32 s50, s27, s61
	s_addc_u32 s37, s37, s47
	s_mul_hi_u32 s49, s27, s61
	s_add_u32 s44, s44, s50
	s_mul_i32 s52, s28, s62
	s_addc_u32 s37, s37, s49
	s_mul_hi_u32 s51, s28, s62
	;; [unrolled: 4-line block ×4, first 2 shown]
	s_add_u32 s20, s20, s22
	s_mul_i32 s31, s42, s58
	s_addc_u32 s19, s19, s21
	s_add_u32 s20, s20, s31
	s_addc_u32 s19, s19, s23
	s_add_u32 s20, s20, s38
	s_mul_i32 s54, s6, 0x3d10
	s_addc_u32 s19, s19, s39
	s_mul_hi_u32 s53, s6, 0x3d10
	s_add_u32 s20, s20, s54
	s_addc_u32 s19, s19, s53
	s_add_u32 s10, s20, s16
	s_addc_u32 s11, s19, s17
	s_mul_hi_u32 s19, s4, s3
	s_mul_i32 s20, s4, s3
	s_mul_hi_u32 s21, s5, s56
	s_mul_i32 s22, s5, s56
	s_mul_i32 s4, s43, s57
	s_mul_hi_u32 s5, s42, s57
	s_add_i32 s23, s5, s4
	s_mul_i32 s4, s27, s1
	s_mul_hi_u32 s5, s27, s0
	s_lshr_b64 s[38:39], s[10:11], 26
	s_lshl_b64 s[44:45], s[6:7], 10
	s_add_i32 s46, s5, s4
	s_mul_hi_u32 s5, s30, s2
	s_mul_i32 s30, s30, s2
	v_writelane_b32 v15, s3, 42
	s_add_u32 s4, s40, s30
	v_writelane_b32 v15, s56, 43
	s_addc_u32 s5, s41, s5
	v_writelane_b32 v15, s57, 44
	s_mul_i32 s31, s42, s57
	s_mul_hi_u32 s37, s18, s58
	s_mul_i32 s18, s18, s58
	s_mul_hi_u32 s42, s25, s59
	s_mul_i32 s25, s25, s59
	s_and_b32 s6, s4, 0x3ffffff
	s_lshr_b64 s[4:5], s[4:5], 26
	v_writelane_b32 v15, s58, 45
	s_add_u32 s18, s25, s18
	v_writelane_b32 v15, s59, 46
	s_mul_hi_u32 s43, s26, s60
	s_mul_i32 s26, s26, s60
	s_addc_u32 s25, s42, s37
	v_writelane_b32 v15, s60, 47
	s_add_u32 s18, s18, s26
	v_writelane_b32 v15, s0, 38
	s_mul_i32 s27, s27, s0
	s_addc_u32 s25, s25, s43
	s_add_u32 s18, s18, s27
	s_mul_hi_u32 s47, s28, s61
	s_mul_i32 s28, s28, s61
	s_addc_u32 s25, s25, s46
	s_add_u32 s18, s18, s28
	s_mul_hi_u32 s48, s29, s62
	s_mul_i32 s29, s29, s62
	s_addc_u32 s25, s25, s47
	s_add_u32 s18, s18, s29
	s_addc_u32 s25, s25, s48
	s_add_u32 s18, s18, s20
	;; [unrolled: 2-line block ×5, first 2 shown]
	s_mul_i32 s40, s6, 0x3d10
	s_addc_u32 s19, s19, s45
	s_mul_hi_u32 s30, s6, 0x3d10
	s_add_u32 s18, s18, s40
	s_addc_u32 s19, s19, s30
	s_add_u32 s46, s18, s38
	s_addc_u32 s47, s19, s39
	s_lshr_b64 s[18:19], s[46:47], 26
	s_lshl_b64 s[26:27], s[6:7], 10
	s_mul_i32 s20, s4, 0x3d10
	s_mul_hi_u32 s6, s4, 0x3d10
	s_add_u32 s20, s20, s24
	s_addc_u32 s6, s6, 0
	s_add_u32 s20, s20, s26
	s_addc_u32 s6, s6, s27
	;; [unrolled: 2-line block ×3, first 2 shown]
	s_lshr_b64 s[18:19], s[12:13], 22
	s_lshl_b64 s[4:5], s[4:5], 14
	s_add_u32 s4, s18, s4
	s_addc_u32 s5, s19, s5
	s_mul_i32 s6, s5, 0x3d1
	s_mul_hi_u32 s18, s4, 0x3d1
	s_add_i32 s18, s18, s6
	s_mul_i32 s6, s4, 0x3d1
	s_add_u32 s50, s6, s34
	v_writelane_b32 v15, s1, 39
	s_addc_u32 s51, s18, 0
	v_writelane_b32 v15, s61, 48
	s_lshr_b64 s[18:19], s[50:51], 26
	s_lshl_b64 s[4:5], s[4:5], 6
	v_writelane_b32 v15, s62, 49
	s_add_u32 s4, s4, s35
	v_writelane_b32 v15, s2, 40
	s_addc_u32 s5, s5, 0
	s_mov_b32 s2, s50
	s_add_u32 s48, s4, s18
	v_writelane_b32 v15, s2, 50
	v_writelane_b32 v15, s3, 51
	s_mov_b32 s2, s48
	v_writelane_b32 v15, s2, 52
	s_addc_u32 s49, s5, s19
	v_writelane_b32 v15, s3, 53
	s_mov_b32 s2, s10
	s_lshr_b64 s[4:5], s[48:49], 26
	v_writelane_b32 v15, s2, 54
	s_add_u32 s0, s4, s36
	v_writelane_b32 v15, s3, 55
	s_mov_b32 s2, s46
	s_addc_u32 s1, s5, 0
	v_writelane_b32 v15, s2, 56
	s_mov_b64 s[4:5], s[8:9]
	s_mov_b32 s18, 44
	s_mov_b64 s[44:45], s[0:1]
	s_mov_b64 s[36:37], s[86:87]
	;; [unrolled: 1-line block ×6, first 2 shown]
	v_writelane_b32 v15, s3, 57
	s_mov_b64 s[2:3], s[12:13]
	s_mov_b64 s[52:53], s[12:13]
.LBB0_13:                               ; =>This Inner Loop Header: Depth=1
	s_lshl_b32 s29, s36, 1
	s_lshl_b32 s31, s34, 1
	;; [unrolled: 1-line block ×4, first 2 shown]
	s_and_b32 s17, s40, 0x3ffffff
	s_and_b32 s6, s42, 0x3ffffff
	;; [unrolled: 1-line block ×6, first 2 shown]
	s_lshl_b32 s13, s44, 1
	s_and_b32 s15, s38, 0x3ffffff
	s_and_b32 s49, s25, 0x7fffffe
	;; [unrolled: 1-line block ×3, first 2 shown]
	s_mul_i32 s51, s17, s43
	s_mul_i32 s71, s31, s6
	s_mul_hi_u32 s52, s17, s43
	s_mul_hi_u32 s62, s31, s6
	;; [unrolled: 1-line block ×3, first 2 shown]
	s_mul_i32 s79, s17, s31
	s_mul_hi_u32 s82, s15, s31
	s_mul_i32 s83, s15, s31
	s_mul_hi_u32 s12, s14, s31
	;; [unrolled: 2-line block ×3, first 2 shown]
	s_mul_i32 s30, s9, s31
	s_add_u32 s31, s51, s71
	s_mul_i32 s53, s15, s13
	s_addc_u32 s62, s52, s62
	s_mul_hi_u32 s55, s15, s13
	s_add_u32 s31, s31, s53
	s_mul_i32 s59, s14, s47
	s_addc_u32 s71, s62, s55
	s_mul_hi_u32 s23, s14, s47
	s_add_u32 s31, s31, s59
	s_mul_hi_u32 s91, s6, s6
	s_mul_i32 s92, s6, s6
	s_mul_hi_u32 s95, s6, s13
	s_mul_i32 vcc_lo, s6, s13
	s_mul_i32 s22, s9, s49
	s_mul_hi_u32 s69, s6, s49
	s_mul_i32 s70, s6, s49
	s_mul_hi_u32 s63, s6, s47
	;; [unrolled: 2-line block ×3, first 2 shown]
	s_mul_i32 s62, s6, s43
	s_addc_u32 s6, s71, s23
	s_mul_hi_u32 s20, s9, s49
	s_add_u32 s72, s31, s22
	s_addc_u32 s73, s6, s20
	s_and_b32 s31, s72, 0x3fffffe
	s_and_b32 s6, s50, 0x3ffffff
	s_lshr_b64 s[72:73], s[72:73], 26
	s_mul_hi_u32 s20, s6, s6
	s_mul_i32 s22, s6, s6
	s_add_u32 s6, s79, s92
	s_mul_i32 s77, s15, s43
	s_addc_u32 s23, s78, s91
	s_mul_hi_u32 s76, s15, s43
	s_add_u32 s6, s6, s77
	s_mul_i32 s57, s14, s13
	s_addc_u32 s23, s23, s76
	s_mul_hi_u32 s29, s14, s13
	;; [unrolled: 4-line block ×3, first 2 shown]
	s_add_u32 s6, s6, s75
	s_addc_u32 s23, s23, s74
	s_add_u32 s72, s6, s72
	s_addc_u32 s73, s23, s73
	s_and_b32 s6, s72, 0x3ffffff
	s_lshr_b64 s[72:73], s[72:73], 26
	s_mul_i32 s29, s6, 0x3d10
	s_mul_hi_u32 s23, s6, 0x3d10
	s_add_u32 s74, s29, s22
	s_addc_u32 s75, s23, s20
	s_lshl_b32 s20, s42, 1
	s_lshl_b64 s[76:77], s[6:7], 10
	s_and_b32 s6, s48, 0x3ffffff
	s_and_b32 s20, s20, 0x7fffffe
	s_mul_i32 s39, s44, s45
	s_mul_hi_u32 s41, s44, s44
	s_mul_i32 s35, s44, s44
	s_mul_hi_u32 s37, s17, s17
	;; [unrolled: 2-line block ×3, first 2 shown]
	s_mul_i32 s27, s17, s13
	s_mul_i32 s84, s49, s45
	s_mul_hi_u32 s85, s49, s44
	s_mul_i32 vcc_hi, s49, s44
	s_mul_i32 s16, s47, s45
	s_mul_hi_u32 s24, s47, s44
	s_mul_i32 s26, s47, s44
	s_mul_hi_u32 s56, s17, s49
	;; [unrolled: 2-line block ×3, first 2 shown]
	s_mul_i32 s45, s17, s47
	s_and_b32 s29, s74, 0x3fffffd
	s_lshr_b64 s[74:75], s[74:75], 26
	s_mul_hi_u32 s22, s49, s6
	s_mul_i32 s23, s49, s6
	s_mul_hi_u32 s42, s6, s6
	s_mul_i32 s48, s6, s6
	;; [unrolled: 2-line block ×3, first 2 shown]
	s_add_u32 s17, s83, s17
	s_mul_i32 s81, s14, s43
	s_addc_u32 s6, s82, s6
	s_mul_hi_u32 s80, s14, s43
	s_add_u32 s17, s17, s81
	s_mul_i32 s67, s9, s13
	s_addc_u32 s6, s6, s80
	s_mul_hi_u32 s66, s9, s13
	s_add_u32 s17, s17, s67
	s_addc_u32 s6, s6, s66
	s_add_u32 s66, s17, s72
	s_addc_u32 s67, s6, s73
	s_and_b32 s6, s66, 0x3ffffff
	s_lshr_b64 s[66:67], s[66:67], 26
	s_add_u32 s23, s76, s23
	s_addc_u32 s22, s77, s22
	s_add_u32 s23, s23, s74
	s_mul_i32 s72, s6, 0x3d10
	s_addc_u32 s22, s22, s75
	s_mul_hi_u32 s17, s6, 0x3d10
	s_add_u32 s72, s23, s72
	s_addc_u32 s73, s22, s17
	s_mul_i32 s57, s15, s20
	s_and_b32 s17, s72, 0x3ffffff
	s_lshl_b64 s[74:75], s[6:7], 10
	s_add_i32 s85, s85, s84
	s_lshr_b64 s[72:73], s[72:73], 26
	s_mul_hi_u32 s50, s15, s20
	s_add_u32 s6, s57, s54
	s_addc_u32 s22, s50, s37
	s_add_u32 s6, s6, s11
	s_mul_i32 s10, s9, s43
	s_addc_u32 s11, s22, s12
	s_mul_hi_u32 s8, s9, s43
	s_add_u32 s6, s6, s10
	s_addc_u32 s8, s11, s8
	s_add_u32 s66, s6, s66
	s_addc_u32 s67, s8, s67
	s_and_b32 s6, s66, 0x3ffffff
	s_lshr_b64 s[66:67], s[66:67], 26
	s_add_u32 s11, vcc_hi, s48
	s_addc_u32 s12, s85, s42
	s_add_u32 s11, s11, s74
	s_mul_i32 s10, s6, 0x3d10
	s_addc_u32 s12, s12, s75
	s_mul_hi_u32 s8, s6, 0x3d10
	s_add_u32 s10, s11, s10
	s_addc_u32 s8, s12, s8
	s_add_u32 s72, s10, s72
	s_addc_u32 s73, s8, s73
	s_lshl_b32 s8, s40, 1
	s_lshl_b64 s[74:75], s[6:7], 10
	s_and_b32 s6, s36, 0x3ffffff
	s_and_b32 s8, s8, 0x7fffffe
	s_mul_hi_u32 s64, s15, s15
	s_mul_i32 s65, s15, s15
	s_mul_hi_u32 s19, s15, s49
	s_mul_i32 s21, s15, s49
	;; [unrolled: 2-line block ×3, first 2 shown]
	s_mul_i32 s78, s14, s20
	s_and_b32 s54, s72, 0x3ffffff
	s_add_i32 s24, s24, s16
	s_lshr_b64 s[36:37], s[72:73], 26
	s_mul_hi_u32 s10, s6, s49
	s_mul_i32 s11, s6, s49
	s_mul_hi_u32 s12, s6, s47
	s_mul_i32 s16, s6, s47
	;; [unrolled: 2-line block ×5, first 2 shown]
	s_mul_hi_u32 s71, s14, s20
	s_add_u32 s15, s78, s15
	s_addc_u32 s6, s71, s6
	s_add_u32 s15, s15, s30
	s_addc_u32 s6, s6, s28
	;; [unrolled: 2-line block ×3, first 2 shown]
	s_and_b32 s6, s66, 0x3ffffff
	s_lshr_b64 s[66:67], s[66:67], 26
	s_add_u32 s11, s11, s26
	s_addc_u32 s10, s10, s24
	s_add_u32 s11, s11, s74
	s_mul_i32 s28, s6, 0x3d10
	s_addc_u32 s10, s10, s75
	s_mul_hi_u32 s15, s6, 0x3d10
	s_add_u32 s11, s11, s28
	s_addc_u32 s10, s10, s15
	s_add_u32 s36, s11, s36
	s_addc_u32 s37, s10, s37
	s_lshl_b64 s[72:73], s[6:7], 10
	s_add_i32 s6, s41, s39
	s_mul_i32 s48, s14, s8
	s_and_b32 s15, s34, 0x3ffffff
	s_lshr_b64 s[40:41], s[36:37], 26
	s_add_i32 s24, s6, s39
	s_mul_hi_u32 s42, s14, s8
	s_add_u32 s6, s48, s65
	s_mul_hi_u32 s79, s9, s20
	s_mul_i32 s20, s9, s20
	s_addc_u32 s34, s42, s64
	s_add_u32 s6, s6, s20
	s_addc_u32 s20, s34, s79
	s_add_u32 s42, s6, s66
	s_mul_hi_u32 s71, s43, s15
	s_mul_i32 s74, s43, s15
	s_addc_u32 s43, s20, s67
	s_and_b32 s6, s42, 0x3ffffff
	s_lshr_b64 s[42:43], s[42:43], 26
	s_add_u32 s16, s16, s35
	s_mul_i32 s11, s15, s49
	s_addc_u32 s12, s12, s24
	s_mul_hi_u32 s10, s15, s49
	s_add_u32 s11, s16, s11
	s_addc_u32 s10, s12, s10
	s_add_u32 s11, s11, s72
	s_mul_i32 s34, s6, 0x3d10
	s_addc_u32 s10, s10, s73
	s_mul_hi_u32 s20, s6, 0x3d10
	s_add_u32 s11, s11, s34
	s_addc_u32 s10, s10, s20
	s_add_u32 s34, s11, s40
	s_addc_u32 s35, s10, s41
	s_lshl_b64 s[40:41], s[6:7], 10
	s_lshl_b32 s6, s38, 1
	s_and_b32 s6, s6, 0x7fffffe
	s_mul_hi_u32 s76, s9, s8
	s_mul_i32 s8, s9, s8
	s_lshr_b64 s[38:39], s[34:35], 26
	s_mul_i32 s11, s6, s14
	s_mul_hi_u32 s93, s14, s14
	s_mul_i32 s94, s14, s14
	s_mul_hi_u32 s51, s14, s49
	;; [unrolled: 2-line block ×3, first 2 shown]
	s_mul_hi_u32 s12, s9, s6
	s_mul_i32 s14, s9, s6
	s_add_u32 s6, s8, s11
	s_addc_u32 s8, s76, s10
	s_add_u32 s42, s6, s42
	s_addc_u32 s43, s8, s43
	s_mul_i32 s28, s15, s47
	s_and_b32 s6, s42, 0x3ffffff
	s_lshr_b64 s[48:49], s[42:43], 26
	s_mul_hi_u32 s26, s15, s47
	s_add_u32 s11, s28, s23
	s_addc_u32 s16, s26, s22
	s_add_u32 s11, s11, s70
	s_addc_u32 s16, s16, s69
	s_add_u32 s11, s11, s40
	s_mul_i32 s10, s6, 0x3d10
	s_addc_u32 s16, s16, s41
	s_mul_hi_u32 s8, s6, 0x3d10
	s_add_u32 s10, s11, s10
	s_addc_u32 s8, s16, s8
	s_add_u32 s42, s10, s38
	s_addc_u32 s43, s8, s39
	s_lshl_b64 s[38:39], s[6:7], 10
	s_lshr_b64 s[40:41], s[42:43], 26
	s_add_u32 s6, s14, s94
	s_addc_u32 s8, s12, s93
	s_add_u32 s48, s6, s48
	s_addc_u32 s49, s8, s49
	s_mul_i32 s37, s15, s13
	s_and_b32 s6, s48, 0x3ffffff
	s_lshr_b64 s[48:49], s[48:49], 26
	s_mul_hi_u32 s30, s15, s13
	s_add_u32 s11, s37, s57
	s_addc_u32 s12, s30, s50
	s_add_u32 s11, s11, s68
	s_addc_u32 s12, s12, s63
	;; [unrolled: 2-line block ×3, first 2 shown]
	s_add_u32 s11, s11, s38
	s_mul_i32 s10, s6, 0x3d10
	s_addc_u32 s12, s12, s39
	s_mul_hi_u32 s8, s6, 0x3d10
	s_add_u32 s10, s11, s10
	s_addc_u32 s8, s12, s8
	s_add_u32 s40, s10, s40
	s_addc_u32 s41, s8, s41
	s_lshl_b64 s[38:39], s[6:7], 10
	s_lshl_b32 s6, s46, 1
	s_and_b32 s6, s6, 0x7fffffe
	s_lshr_b64 s[46:47], s[40:41], 26
	s_mul_hi_u32 s8, s6, s9
	s_mul_i32 s6, s6, s9
	s_add_u32 s48, s48, s6
	s_addc_u32 s49, s49, s8
	s_and_b32 s6, s48, 0x3ffffff
	s_lshr_b64 s[48:49], s[48:49], 26
	s_add_u32 s10, vcc_lo, s74
	s_addc_u32 s11, s95, s71
	s_add_u32 s10, s10, s45
	s_addc_u32 s11, s11, s44
	s_add_u32 s10, s10, s21
	;; [unrolled: 2-line block ×3, first 2 shown]
	s_mul_hi_u32 s60, s9, s9
	s_mul_i32 s61, s9, s9
	s_mul_i32 s9, s6, 0x3d10
	s_addc_u32 s11, s11, s39
	s_mul_hi_u32 s8, s6, 0x3d10
	s_add_u32 s9, s10, s9
	s_addc_u32 s8, s11, s8
	s_add_u32 s38, s9, s46
	s_addc_u32 s39, s8, s47
	s_lshl_b64 s[46:47], s[6:7], 10
	s_lshr_b64 s[44:45], s[38:39], 26
	s_add_u32 s48, s48, s61
	s_addc_u32 s49, s49, s60
	s_mul_hi_u32 s13, s15, s15
	s_mul_i32 s15, s15, s15
	s_and_b32 s6, s48, 0x3ffffff
	s_lshr_b64 s[48:49], s[48:49], 26
	s_add_u32 s10, s62, s15
	s_addc_u32 s13, s59, s13
	s_add_u32 s10, s10, s27
	s_addc_u32 s13, s13, s25
	;; [unrolled: 2-line block ×4, first 2 shown]
	s_add_u32 s10, s10, s46
	s_mul_i32 s9, s6, 0x3d10
	s_addc_u32 s13, s13, s47
	s_mul_hi_u32 s8, s6, 0x3d10
	s_add_u32 s9, s10, s9
	s_addc_u32 s8, s13, s8
	s_add_u32 s46, s9, s44
	s_addc_u32 s47, s8, s45
	s_mul_i32 s12, s48, 0x3d10
	s_lshl_b64 s[44:45], s[6:7], 10
	s_lshr_b64 s[50:51], s[46:47], 26
	s_mul_hi_u32 s11, s48, 0x3d10
	s_add_u32 s6, s12, s31
	s_addc_u32 s8, s11, 0
	s_add_u32 s6, s6, s44
	s_addc_u32 s8, s8, s45
	;; [unrolled: 2-line block ×3, first 2 shown]
	s_lshl_b64 s[44:45], s[48:49], 14
	s_lshr_b64 s[48:49], s[52:53], 22
	s_add_u32 s44, s48, s44
	s_addc_u32 s45, s49, s45
	s_mul_hi_u32 s6, s44, 0x3d1
	s_mul_i32 s9, s45, 0x3d1
	s_mul_i32 s8, s44, 0x3d1
	s_add_i32 s6, s6, s9
	s_add_u32 s50, s8, s29
	s_addc_u32 s51, s6, 0
	s_lshl_b64 s[44:45], s[44:45], 6
	s_lshr_b64 s[48:49], s[50:51], 26
	s_add_u32 s6, s44, s17
	s_addc_u32 s8, s45, 0
	s_add_u32 s48, s6, s48
	s_addc_u32 s49, s8, s49
	s_lshr_b64 s[44:45], s[48:49], 26
	s_add_u32 s44, s44, s54
	s_addc_u32 s45, s45, 0
	s_add_i32 s18, s18, -1
	s_cmp_lg_u32 s18, 0
	s_cbranch_scc1 .LBB0_13
; %bb.14:
	v_readlane_b32 s12, v15, 54
	s_and_b32 s94, s4, 0x3ffffff
	v_readlane_b32 s4, v15, 52
	v_readlane_b32 s13, v15, 55
	s_and_b32 s93, s12, 0x3ffffff
	s_and_b32 s29, s34, 0x3ffffff
	;; [unrolled: 1-line block ×3, first 2 shown]
	v_readlane_b32 s5, v15, 53
	v_readlane_b32 s10, v15, 56
	s_mul_i32 s12, s45, s93
	s_mul_hi_u32 s13, s44, s93
	s_and_b32 s28, s36, 0x3ffffff
	s_and_b32 s95, s90, 0x3ffffff
	s_mul_i32 s18, s34, s1
	s_mul_hi_u32 s23, s34, s0
	s_and_b32 s64, s4, 0x3ffffff
	v_readlane_b32 s4, v15, 50
	s_and_b32 s9, s50, 0x3ffffff
	s_and_b32 s2, s2, 0x3fffff
	;; [unrolled: 1-line block ×4, first 2 shown]
	s_add_i32 s13, s13, s12
	s_mul_i32 s15, s28, s94
	s_mul_i32 s17, s29, s95
	s_and_b32 s30, s42, 0x3ffffff
	s_and_b32 vcc_lo, s88, 0x3ffffff
	s_and_b32 s31, s40, 0x3ffffff
	s_and_b32 vcc_hi, s86, 0x3ffffff
	s_add_i32 s23, s23, s18
	s_and_b32 s35, s46, 0x3ffffff
	s_and_b32 s36, s52, 0x3fffff
	;; [unrolled: 1-line block ×3, first 2 shown]
	s_mul_hi_u32 s14, s28, s94
	s_mul_hi_u32 s16, s29, s95
	s_add_u32 s15, s17, s15
	s_mul_i32 s20, s30, vcc_lo
	s_addc_u32 s14, s16, s14
	s_mul_hi_u32 s19, s30, vcc_lo
	s_add_u32 s15, s15, s20
	s_mul_i32 s22, s31, vcc_hi
	s_addc_u32 s14, s14, s19
	s_mul_hi_u32 s21, s31, vcc_hi
	s_add_u32 s15, s15, s22
	s_mul_i32 s24, s34, s0
	s_addc_u32 s14, s14, s21
	s_add_u32 s15, s15, s24
	s_mul_i32 s27, s35, s64
	s_addc_u32 s14, s14, s23
	s_mul_hi_u32 s26, s35, s64
	s_add_u32 s15, s15, s27
	s_mul_i32 s38, s36, s18
	s_addc_u32 s14, s14, s26
	s_mul_hi_u32 s37, s36, s18
	;; [unrolled: 4-line block ×3, first 2 shown]
	v_readlane_b32 s11, v15, 57
	s_add_u32 s8, s15, s8
	s_mul_i32 s11, s25, s92
	s_addc_u32 s6, s14, s6
	s_mul_hi_u32 s10, s25, s92
	s_add_u32 s8, s8, s11
	s_mul_i32 s12, s44, s93
	s_addc_u32 s6, s6, s10
	s_add_u32 s10, s8, s12
	s_addc_u32 s11, s6, s13
	s_mul_i32 s15, s45, s92
	s_mul_hi_u32 s16, s44, s92
	s_mul_i32 s38, s35, s1
	s_mul_hi_u32 s39, s35, s0
	s_and_b32 s8, s10, 0x3ffffff
	s_lshr_b64 s[10:11], s[10:11], 26
	s_add_i32 s16, s16, s15
	s_mul_i32 s19, s28, s93
	s_mul_i32 s21, s29, s94
	s_add_i32 s39, s39, s38
	s_mul_hi_u32 s17, s28, s93
	s_mul_hi_u32 s20, s29, s94
	s_add_u32 s19, s21, s19
	s_mul_i32 s23, s30, s95
	s_addc_u32 s17, s20, s17
	s_mul_hi_u32 s22, s30, s95
	s_add_u32 s19, s19, s23
	s_mul_i32 s26, s31, vcc_lo
	s_addc_u32 s17, s17, s22
	s_mul_hi_u32 s24, s31, vcc_lo
	s_add_u32 s19, s19, s26
	s_mul_i32 s37, s34, vcc_hi
	s_addc_u32 s17, s17, s24
	s_mul_hi_u32 s27, s34, vcc_hi
	s_add_u32 s19, s19, s37
	s_mul_i32 s38, s35, s0
	s_addc_u32 s17, s17, s27
	s_add_u32 s19, s19, s38
	s_mul_i32 s41, s36, s64
	s_addc_u32 s17, s17, s39
	s_mul_hi_u32 s40, s36, s64
	s_add_u32 s19, s19, s41
	s_mul_i32 s14, s25, s2
	s_addc_u32 s17, s17, s40
	s_mul_hi_u32 s6, s25, s2
	s_add_u32 s14, s19, s14
	s_mul_i32 s15, s44, s92
	s_addc_u32 s6, s17, s6
	s_add_u32 s14, s14, s15
	s_addc_u32 s6, s6, s16
	s_add_u32 s10, s14, s10
	s_addc_u32 s11, s6, s11
	s_and_b32 s6, s10, 0x3ffffff
	s_mul_i32 s12, s9, s18
	s_lshr_b64 s[10:11], s[10:11], 26
	s_mul_i32 s15, s6, 0x3d10
	s_mov_b32 s7, 0
	s_mul_hi_u32 s13, s9, s18
	s_mul_hi_u32 s14, s6, 0x3d10
	s_add_u32 s12, s15, s12
	s_addc_u32 s13, s14, s13
	s_lshl_b64 s[14:15], s[6:7], 10
	s_mul_i32 s6, s45, s2
	s_mul_hi_u32 s21, s44, s2
	s_mul_i32 s47, s36, s1
	s_mul_hi_u32 s48, s36, s0
	s_and_b32 s24, s12, 0x3ffffff
	s_lshr_b64 s[12:13], s[12:13], 26
	s_add_i32 s21, s21, s6
	s_mul_i32 s23, s28, s92
	s_mul_i32 s27, s29, s93
	s_add_i32 s48, s48, s47
	s_mul_hi_u32 s22, s28, s92
	s_mul_hi_u32 s26, s29, s93
	s_add_u32 s23, s27, s23
	s_mul_i32 s38, s30, s94
	s_addc_u32 s22, s26, s22
	s_mul_hi_u32 s37, s30, s94
	s_add_u32 s23, s23, s38
	s_mul_i32 s40, s31, s95
	s_addc_u32 s22, s22, s37
	s_mul_hi_u32 s39, s31, s95
	s_add_u32 s23, s23, s40
	s_mul_i32 s42, s34, vcc_lo
	s_addc_u32 s22, s22, s39
	s_mul_hi_u32 s41, s34, vcc_lo
	s_add_u32 s23, s23, s42
	s_mul_i32 s46, s35, vcc_hi
	s_addc_u32 s22, s22, s41
	s_mul_hi_u32 s43, s35, vcc_hi
	s_add_u32 s23, s23, s46
	s_mul_i32 s47, s36, s0
	s_addc_u32 s22, s22, s43
	s_add_u32 s23, s23, s47
	s_mul_i32 s6, s44, s2
	s_addc_u32 s22, s22, s48
	s_add_u32 s6, s23, s6
	s_addc_u32 s21, s22, s21
	s_add_u32 s10, s6, s10
	s_addc_u32 s11, s21, s11
	s_mul_i32 s17, s9, s64
	s_mul_i32 s20, s25, s18
	s_and_b32 s6, s10, 0x3ffffff
	s_lshr_b64 s[10:11], s[10:11], 26
	s_mul_hi_u32 s16, s9, s64
	s_mul_hi_u32 s19, s25, s18
	s_add_u32 s17, s20, s17
	s_addc_u32 s16, s19, s16
	s_add_u32 s14, s17, s14
	s_addc_u32 s15, s16, s15
	s_add_u32 s12, s14, s12
	s_mul_i32 s22, s6, 0x3d10
	s_addc_u32 s13, s15, s13
	s_mul_hi_u32 s21, s6, 0x3d10
	s_add_u32 s12, s12, s22
	s_addc_u32 s13, s13, s21
	s_lshl_b64 s[14:15], s[6:7], 10
	s_mul_i32 s6, s9, s1
	s_mul_hi_u32 s16, s9, s0
	s_add_i32 s16, s16, s6
	s_mul_i32 s6, s45, s18
	s_mul_hi_u32 s21, s44, s18
	s_and_b32 s38, s12, 0x3ffffff
	s_lshr_b64 s[12:13], s[12:13], 26
	s_add_i32 s21, s21, s6
	s_mul_i32 s23, s28, s2
	s_mul_i32 s27, s29, s92
	s_mul_hi_u32 s6, s28, s2
	s_mul_hi_u32 s26, s29, s92
	s_add_u32 s23, s27, s23
	s_mul_i32 s39, s30, s93
	s_addc_u32 s6, s26, s6
	s_mul_hi_u32 s37, s30, s93
	s_add_u32 s23, s23, s39
	s_mul_i32 s41, s31, s94
	s_addc_u32 s6, s6, s37
	;; [unrolled: 4-line block ×3, first 2 shown]
	s_mul_hi_u32 s42, s34, s95
	s_add_u32 s23, s23, s43
	s_mul_i32 s47, s35, vcc_lo
	s_addc_u32 s6, s6, s42
	s_mul_hi_u32 s46, s35, vcc_lo
	s_add_u32 s23, s23, s47
	s_mul_i32 s49, s36, vcc_hi
	s_addc_u32 s6, s6, s46
	s_mul_hi_u32 s48, s36, vcc_hi
	s_add_u32 s23, s23, s49
	s_addc_u32 s6, s6, s48
	s_add_u32 s10, s23, s10
	s_addc_u32 s11, s6, s11
	s_mul_i32 s17, s9, s0
	s_mul_i32 s20, s25, s64
	s_and_b32 s6, s10, 0x3ffffff
	s_lshr_b64 s[10:11], s[10:11], 26
	s_mul_hi_u32 s19, s25, s64
	s_add_u32 s17, s20, s17
	s_mul_i32 s22, s44, s18
	s_addc_u32 s16, s19, s16
	s_add_u32 s17, s17, s22
	s_addc_u32 s16, s16, s21
	s_add_u32 s14, s17, s14
	s_mul_i32 s26, s6, 0x3d10
	s_addc_u32 s15, s16, s15
	s_mul_hi_u32 s23, s6, 0x3d10
	s_add_u32 s14, s14, s26
	s_addc_u32 s15, s15, s23
	s_add_u32 s12, s14, s12
	s_addc_u32 s13, s15, s13
	s_lshl_b64 s[14:15], s[6:7], 10
	s_mul_i32 s6, s25, s1
	s_mul_hi_u32 s16, s25, s0
	s_add_i32 s21, s16, s6
	s_mul_i32 s6, s45, s64
	s_mul_hi_u32 s16, s44, s64
	s_and_b32 s39, s12, 0x3ffffff
	s_lshr_b64 s[12:13], s[12:13], 26
	s_add_i32 s23, s16, s6
	s_mul_i32 s16, s29, s2
	s_mul_i32 s40, s30, s92
	s_mul_hi_u32 s6, s29, s2
	s_mul_hi_u32 s17, s30, s92
	s_add_u32 s16, s40, s16
	s_mul_i32 s42, s31, s93
	s_addc_u32 s6, s17, s6
	s_mul_hi_u32 s41, s31, s93
	s_add_u32 s16, s16, s42
	s_mul_i32 s46, s34, s94
	s_addc_u32 s6, s6, s41
	;; [unrolled: 4-line block ×3, first 2 shown]
	s_mul_hi_u32 s47, s35, s95
	s_add_u32 s16, s16, s48
	s_mul_i32 s50, s36, vcc_lo
	s_addc_u32 s6, s6, s47
	s_mul_hi_u32 s49, s36, vcc_lo
	s_add_u32 s16, s16, s50
	s_addc_u32 s6, s6, s49
	s_add_u32 s10, s16, s10
	s_addc_u32 s11, s6, s11
	s_mul_i32 s20, s9, vcc_hi
	s_mul_i32 s37, s28, s18
	s_and_b32 s6, s10, 0x3ffffff
	s_lshr_b64 s[16:17], s[10:11], 26
	s_mul_hi_u32 s19, s9, vcc_hi
	s_mul_hi_u32 s27, s28, s18
	s_add_u32 s20, s20, s37
	s_mul_i32 s22, s25, s0
	s_addc_u32 s19, s19, s27
	s_add_u32 s20, s20, s22
	s_mul_i32 s26, s44, s64
	s_addc_u32 s19, s19, s21
	s_add_u32 s20, s20, s26
	s_addc_u32 s19, s19, s23
	s_add_u32 s14, s20, s14
	s_mul_i32 s11, s6, 0x3d10
	s_addc_u32 s15, s19, s15
	s_mul_hi_u32 s10, s6, 0x3d10
	s_add_u32 s11, s14, s11
	s_addc_u32 s14, s15, s10
	v_readlane_b32 s5, v15, 51
	s_add_u32 s4, s11, s12
	s_addc_u32 s5, s14, s13
	s_lshl_b64 s[14:15], s[6:7], 10
	s_mul_i32 s6, s44, s1
	s_mul_hi_u32 s23, s44, s0
	s_add_i32 s6, s23, s6
	s_mul_i32 s23, s45, s0
	s_lshr_b64 s[12:13], s[4:5], 26
	s_add_i32 s23, s6, s23
	s_mul_i32 s42, s30, s2
	s_mul_i32 s46, s31, s92
	s_mul_hi_u32 s6, s30, s2
	s_mul_hi_u32 s43, s31, s92
	s_add_u32 s42, s46, s42
	s_mul_i32 s48, s34, s93
	s_addc_u32 s6, s43, s6
	s_mul_hi_u32 s47, s34, s93
	s_add_u32 s42, s42, s48
	s_mul_i32 s50, s35, s94
	s_addc_u32 s6, s6, s47
	;; [unrolled: 4-line block ×3, first 2 shown]
	s_mul_hi_u32 s51, s36, s95
	s_add_u32 s42, s42, s52
	s_addc_u32 s6, s6, s51
	s_add_u32 s16, s42, s16
	s_addc_u32 s17, s6, s17
	s_mul_i32 s37, s28, s64
	s_mul_i32 s41, s29, s18
	s_and_b32 s6, s16, 0x3ffffff
	s_lshr_b64 s[16:17], s[16:17], 26
	s_mul_hi_u32 s27, s28, s64
	s_mul_hi_u32 s40, s29, s18
	s_add_u32 s37, s41, s37
	s_mul_i32 s20, s9, vcc_lo
	s_addc_u32 s27, s40, s27
	s_mul_hi_u32 s19, s9, vcc_lo
	s_add_u32 s20, s37, s20
	s_mul_i32 s22, s25, vcc_hi
	s_addc_u32 s19, s27, s19
	s_mul_hi_u32 s21, s25, vcc_hi
	s_add_u32 s20, s20, s22
	s_mul_i32 s26, s44, s0
	s_addc_u32 s19, s19, s21
	s_add_u32 s20, s20, s26
	s_addc_u32 s19, s19, s23
	s_add_u32 s14, s20, s14
	s_mul_i32 s43, s6, 0x3d10
	s_addc_u32 s15, s19, s15
	s_mul_hi_u32 s42, s6, 0x3d10
	s_add_u32 s14, s14, s43
	s_addc_u32 s15, s15, s42
	s_add_u32 s10, s14, s12
	s_addc_u32 s11, s15, s13
	s_lshl_b64 s[26:27], s[6:7], 10
	s_mul_i32 s6, s45, vcc_hi
	s_mul_hi_u32 s23, s44, vcc_hi
	s_add_i32 s23, s23, s6
	s_mul_i32 s6, s28, s1
	s_mul_hi_u32 s40, s28, s0
	s_lshr_b64 s[14:15], s[10:11], 26
	s_add_i32 s40, s40, s6
	s_mul_i32 s48, s31, s2
	s_mul_i32 s50, s34, s92
	s_mul_hi_u32 s6, s31, s2
	s_mul_hi_u32 s49, s34, s92
	s_add_u32 s48, s50, s48
	s_mul_i32 s52, s35, s93
	s_addc_u32 s6, s49, s6
	s_mul_hi_u32 s51, s35, s93
	s_add_u32 s48, s48, s52
	s_mul_i32 s54, s36, s94
	s_addc_u32 s6, s6, s51
	s_mul_hi_u32 s53, s36, s94
	s_add_u32 s48, s48, s54
	s_addc_u32 s6, s6, s53
	s_add_u32 s16, s48, s16
	s_addc_u32 s17, s6, s17
	s_mul_i32 s41, s28, s0
	s_mul_i32 s43, s29, s64
	s_and_b32 s6, s16, 0x3ffffff
	s_lshr_b64 s[16:17], s[16:17], 26
	s_mul_hi_u32 s42, s29, s64
	s_add_u32 s41, s43, s41
	s_mul_i32 s47, s30, s18
	s_addc_u32 s40, s42, s40
	s_mul_hi_u32 s46, s30, s18
	s_add_u32 s41, s41, s47
	s_mul_i32 s20, s9, s95
	s_addc_u32 s40, s40, s46
	s_mul_hi_u32 s19, s9, s95
	s_add_u32 s20, s41, s20
	s_mul_i32 s22, s25, vcc_lo
	s_addc_u32 s19, s40, s19
	s_mul_hi_u32 s21, s25, vcc_lo
	s_add_u32 s20, s20, s22
	s_mul_i32 s37, s44, vcc_hi
	s_addc_u32 s19, s19, s21
	s_add_u32 s20, s20, s37
	s_addc_u32 s19, s19, s23
	s_add_u32 s20, s20, s26
	s_mul_i32 s49, s6, 0x3d10
	s_addc_u32 s19, s19, s27
	s_mul_hi_u32 s48, s6, 0x3d10
	s_add_u32 s20, s20, s49
	s_addc_u32 s19, s19, s48
	s_add_u32 s12, s20, s14
	s_addc_u32 s13, s19, s15
	s_lshl_b64 s[40:41], s[6:7], 10
	s_mul_i32 s6, s45, vcc_lo
	s_mul_hi_u32 s23, s44, vcc_lo
	s_add_i32 s23, s23, s6
	s_mul_i32 s6, s29, s1
	s_mul_hi_u32 s42, s29, s0
	s_lshr_b64 s[26:27], s[12:13], 26
	s_add_i32 s48, s42, s6
	s_mul_i32 s42, s34, s2
	s_mul_i32 s54, s35, s92
	s_mul_hi_u32 s6, s34, s2
	s_mul_hi_u32 s43, s35, s92
	s_add_u32 s42, s54, s42
	s_mul_i32 s56, s36, s93
	s_addc_u32 s6, s43, s6
	s_mul_hi_u32 s55, s36, s93
	s_add_u32 s42, s42, s56
	s_addc_u32 s6, s6, s55
	s_add_u32 s16, s42, s16
	s_addc_u32 s17, s6, s17
	s_mul_i32 s47, s28, vcc_hi
	s_mul_i32 s49, s29, s0
	s_and_b32 s6, s16, 0x3ffffff
	s_lshr_b64 s[42:43], s[16:17], 26
	s_mul_hi_u32 s46, s28, vcc_hi
	s_add_u32 s47, s49, s47
	s_mul_i32 s51, s30, s64
	s_addc_u32 s46, s48, s46
	s_mul_hi_u32 s50, s30, s64
	s_add_u32 s47, s47, s51
	s_mul_i32 s53, s31, s18
	s_addc_u32 s46, s46, s50
	s_mul_hi_u32 s52, s31, s18
	;; [unrolled: 4-line block ×4, first 2 shown]
	s_add_u32 s20, s20, s22
	s_mul_i32 s37, s44, vcc_lo
	s_addc_u32 s19, s19, s21
	s_add_u32 s20, s20, s37
	s_addc_u32 s19, s19, s23
	s_add_u32 s20, s20, s40
	s_mul_i32 s17, s6, 0x3d10
	s_addc_u32 s19, s19, s41
	s_mul_hi_u32 s16, s6, 0x3d10
	s_add_u32 s17, s20, s17
	s_addc_u32 s19, s19, s16
	s_add_u32 s14, s17, s26
	s_addc_u32 s15, s19, s27
	s_lshl_b64 s[40:41], s[6:7], 10
	s_mul_i32 s6, s45, s95
	s_mul_hi_u32 s23, s44, s95
	s_add_i32 s23, s23, s6
	s_mul_i32 s6, s30, s1
	s_mul_hi_u32 s50, s30, s0
	s_lshr_b64 s[26:27], s[14:15], 26
	s_add_i32 s50, s50, s6
	s_mul_i32 s56, s35, s2
	s_mul_i32 s58, s36, s92
	s_mul_hi_u32 s6, s35, s2
	s_mul_hi_u32 s57, s36, s92
	s_add_u32 s56, s58, s56
	s_addc_u32 s6, s57, s6
	s_add_u32 s42, s56, s42
	s_addc_u32 s43, s6, s43
	s_mul_i32 s47, s28, vcc_lo
	s_mul_i32 s49, s29, vcc_hi
	s_and_b32 s6, s42, 0x3ffffff
	s_lshr_b64 s[42:43], s[42:43], 26
	s_mul_hi_u32 s46, s28, vcc_lo
	s_mul_hi_u32 s48, s29, vcc_hi
	s_add_u32 s47, s49, s47
	s_mul_i32 s51, s30, s0
	s_addc_u32 s46, s48, s46
	s_add_u32 s47, s47, s51
	s_mul_i32 s53, s31, s64
	s_addc_u32 s46, s46, s50
	s_mul_hi_u32 s52, s31, s64
	s_add_u32 s47, s47, s53
	s_mul_i32 s55, s34, s18
	s_addc_u32 s46, s46, s52
	s_mul_hi_u32 s54, s34, s18
	s_add_u32 s47, s47, s55
	s_mul_i32 s20, s9, s93
	s_addc_u32 s46, s46, s54
	s_mul_hi_u32 s19, s9, s93
	s_add_u32 s20, s47, s20
	s_mul_i32 s22, s25, s94
	s_addc_u32 s19, s46, s19
	s_mul_hi_u32 s21, s25, s94
	s_add_u32 s20, s20, s22
	s_mul_i32 s37, s44, s95
	s_addc_u32 s19, s19, s21
	s_add_u32 s20, s20, s37
	s_addc_u32 s19, s19, s23
	s_add_u32 s20, s20, s40
	s_mul_i32 s57, s6, 0x3d10
	s_addc_u32 s19, s19, s41
	s_mul_hi_u32 s56, s6, 0x3d10
	s_add_u32 s20, s20, s57
	s_addc_u32 s19, s19, s56
	s_add_u32 s16, s20, s26
	s_addc_u32 s17, s19, s27
	s_lshl_b64 s[46:47], s[6:7], 10
	s_mul_i32 s6, s45, s94
	s_mul_hi_u32 s21, s44, s94
	s_add_i32 s21, s21, s6
	s_mul_hi_u32 s23, s28, s95
	s_mul_i32 s37, s28, s95
	s_mul_i32 s6, s31, s1
	s_mul_hi_u32 s28, s31, s0
	s_lshr_b64 s[40:41], s[16:17], 26
	s_add_i32 s49, s28, s6
	s_mul_hi_u32 s6, s36, s2
	s_mul_i32 s36, s36, s2
	s_add_u32 s28, s42, s36
	s_mul_i32 s22, s44, s94
	s_mul_hi_u32 s44, s29, vcc_lo
	s_mul_i32 s45, s29, vcc_lo
	s_addc_u32 s29, s43, s6
	s_and_b32 s6, s28, 0x3ffffff
	s_lshr_b64 s[28:29], s[28:29], 26
	s_add_u32 s37, s45, s37
	s_mul_hi_u32 s48, s30, vcc_hi
	s_mul_i32 s30, s30, vcc_hi
	s_addc_u32 s23, s44, s23
	s_add_u32 s30, s37, s30
	v_writelane_b32 v15, s0, 54
	s_mul_i32 s31, s31, s0
	s_addc_u32 s23, s23, s48
	s_add_u32 s30, s30, s31
	s_mul_hi_u32 s50, s34, s64
	s_mul_i32 s34, s34, s64
	s_addc_u32 s23, s23, s49
	s_add_u32 s30, s30, s34
	s_mul_hi_u32 s51, s35, s18
	;; [unrolled: 4-line block ×4, first 2 shown]
	s_mul_i32 s25, s25, s93
	s_addc_u32 s19, s23, s19
	s_add_u32 s9, s9, s25
	s_addc_u32 s19, s19, s20
	s_add_u32 s9, s9, s22
	;; [unrolled: 2-line block ×3, first 2 shown]
	s_mul_i32 s42, s6, 0x3d10
	s_addc_u32 s19, s19, s47
	s_mul_hi_u32 s36, s6, 0x3d10
	s_add_u32 s9, s9, s42
	s_addc_u32 s19, s19, s36
	s_add_u32 s42, s9, s40
	s_addc_u32 s43, s19, s41
	s_lshr_b64 s[34:35], s[42:43], 26
	s_lshl_b64 s[36:37], s[6:7], 10
	s_mul_i32 s9, s28, 0x3d10
	s_mul_hi_u32 s6, s28, 0x3d10
	s_add_u32 s8, s9, s8
	s_addc_u32 s6, s6, 0
	s_add_u32 s8, s8, s36
	s_addc_u32 s6, s6, s37
	;; [unrolled: 2-line block ×3, first 2 shown]
	s_lshr_b64 s[8:9], s[54:55], 22
	s_lshl_b64 s[28:29], s[28:29], 14
	s_add_u32 s8, s8, s28
	s_addc_u32 s9, s9, s29
	s_mul_i32 s6, s9, 0x3d1
	s_mul_hi_u32 s19, s8, 0x3d1
	s_add_i32 s19, s19, s6
	s_mul_i32 s6, s8, 0x3d1
	s_add_u32 s52, s6, s24
	s_addc_u32 s53, s19, 0
	s_lshr_b64 s[24:25], s[52:53], 26
	s_lshl_b64 s[8:9], s[8:9], 6
	v_writelane_b32 v15, s1, 55
	s_add_u32 s6, s8, s38
	v_writelane_b32 v15, s2, 50
	s_addc_u32 s8, s9, 0
	s_mov_b32 s0, s52
	s_add_u32 s50, s6, s24
	v_writelane_b32 v15, s0, 58
	v_writelane_b32 v15, s1, 59
	s_mov_b32 s0, s50
	v_writelane_b32 v15, s0, 60
	v_writelane_b32 v15, s1, 61
	s_mov_b32 s0, s4
	v_writelane_b32 v15, s0, 52
	v_writelane_b32 v15, s1, 53
	s_mov_b32 s0, s10
	v_writelane_b32 v15, s0, 56
	v_writelane_b32 v15, s1, 57
	s_mov_b32 s0, s12
	v_writelane_b32 v15, s0, 62
	v_writelane_b32 v15, s1, 63
	s_mov_b32 s0, s14
                                        ; implicit-def: $vgpr14 : SGPR spill to VGPR lane
	s_addc_u32 s51, s8, s25
	v_writelane_b32 v14, s0, 0
	v_writelane_b32 v14, s1, 1
	s_mov_b32 s0, s16
	v_writelane_b32 v14, s0, 2
	s_lshr_b64 s[8:9], s[50:51], 26
	v_writelane_b32 v14, s1, 3
	s_mov_b32 s0, s42
	s_add_u32 s8, s8, s39
	v_writelane_b32 v14, s0, 4
	s_addc_u32 s9, s9, 0
	v_writelane_b32 v14, s1, 5
	s_mov_b32 s0, s54
	s_movk_i32 s59, 0x58
	s_mov_b64 s[24:25], s[8:9]
	s_mov_b64 s[40:41], s[4:5]
	;; [unrolled: 1-line block ×6, first 2 shown]
	v_writelane_b32 v14, s0, 6
	v_writelane_b32 v14, s1, 7
.LBB0_15:                               ; =>This Inner Loop Header: Depth=1
	s_lshl_b32 s21, s50, 1
	s_lshl_b32 s35, s40, 1
	;; [unrolled: 1-line block ×4, first 2 shown]
	s_and_b32 s27, s46, 0x3ffffff
	s_and_b32 s6, s48, 0x3ffffff
	;; [unrolled: 1-line block ×7, first 2 shown]
	s_lshl_b32 s15, s24, 1
	s_and_b32 s17, s44, 0x3ffffff
	s_and_b32 s43, s19, 0x7fffffe
	s_mul_i32 s80, s27, s35
	s_mul_i32 s82, s21, s6
	s_mul_hi_u32 s70, s27, s35
	s_mul_hi_u32 s81, s21, s6
	s_add_u32 s5, s80, s82
	s_mul_i32 s67, s17, s15
	s_addc_u32 s70, s70, s81
	s_mul_hi_u32 s63, s17, s15
	s_add_u32 s5, s5, s67
	s_mul_i32 s73, s13, s37
	s_addc_u32 s80, s70, s63
	s_mul_hi_u32 s23, s13, s37
	s_add_u32 s5, s5, s73
	s_mul_hi_u32 s56, s6, s6
	s_mul_i32 s19, s6, s6
	s_mul_hi_u32 s57, s6, s15
	s_mul_i32 s60, s6, s15
	s_mul_i32 s22, s11, s43
	s_mul_hi_u32 s78, s6, s43
	s_mul_i32 s79, s6, s43
	s_mul_hi_u32 s76, s6, s37
	;; [unrolled: 2-line block ×3, first 2 shown]
	s_mul_i32 s73, s6, s35
	s_addc_u32 s6, s80, s23
	s_mul_hi_u32 s20, s11, s43
	s_add_u32 s80, s5, s22
	s_addc_u32 s81, s6, s20
	s_mul_i32 s88, s27, s21
	s_and_b32 s5, s52, 0x3ffffff
	s_and_b32 s52, s80, 0x3fffffe
	s_lshr_b64 s[80:81], s[80:81], 26
	s_mul_hi_u32 s87, s27, s21
	s_add_u32 s6, s88, s19
	s_mul_i32 s86, s17, s35
	s_addc_u32 s19, s87, s56
	s_mul_hi_u32 s85, s17, s35
	s_add_u32 s6, s6, s86
	s_mul_i32 s72, s13, s15
	s_addc_u32 s19, s19, s85
	;; [unrolled: 4-line block ×3, first 2 shown]
	s_mul_hi_u32 s83, s11, s37
	s_add_u32 s6, s6, s84
	s_addc_u32 s19, s19, s83
	s_add_u32 s80, s6, s80
	s_addc_u32 s81, s19, s81
	s_and_b32 s6, s80, 0x3ffffff
	s_mul_hi_u32 s20, s5, s5
	s_mul_i32 s5, s5, s5
	s_lshr_b64 s[80:81], s[80:81], 26
	s_mul_i32 s22, s6, 0x3d10
	s_mul_hi_u32 s19, s6, 0x3d10
	s_add_u32 s82, s22, s5
	s_addc_u32 s83, s19, s20
	s_lshl_b64 s[84:85], s[6:7], 10
	s_lshl_b32 s6, s48, 1
	s_and_b32 s6, s6, 0x7fffffe
	s_mul_hi_u32 s41, s27, s27
	s_mul_i32 s49, s27, s27
	s_mul_hi_u32 s51, s27, s15
	s_mul_i32 s53, s27, s15
	;; [unrolled: 2-line block ×7, first 2 shown]
	s_and_b32 s69, s82, 0x3fffffd
	s_and_b32 s5, s50, 0x3ffffff
	s_lshr_b64 s[82:83], s[82:83], 26
	s_mul_hi_u32 s23, s6, s27
	s_mul_i32 s27, s6, s27
	s_mul_hi_u32 s48, s17, s6
	s_mul_i32 s50, s17, s6
	;; [unrolled: 2-line block ×4, first 2 shown]
	s_add_u32 s6, s12, s27
	s_mul_i32 s90, s13, s35
	s_addc_u32 s10, s10, s23
	s_mul_hi_u32 s89, s13, s35
	s_add_u32 s6, s6, s90
	s_mul_i32 s66, s11, s15
	s_addc_u32 s10, s10, s89
	s_mul_hi_u32 s65, s11, s15
	s_add_u32 s6, s6, s66
	s_addc_u32 s10, s10, s65
	s_add_u32 s80, s6, s80
	s_addc_u32 s81, s10, s81
	s_mul_i32 s20, s43, s5
	s_and_b32 s6, s80, 0x3ffffff
	s_lshr_b64 s[80:81], s[80:81], 26
	s_mul_hi_u32 s19, s43, s5
	s_add_u32 s20, s84, s20
	s_addc_u32 s19, s85, s19
	s_add_u32 s20, s20, s82
	s_mul_i32 s12, s6, 0x3d10
	s_addc_u32 s19, s19, s83
	s_mul_hi_u32 s10, s6, 0x3d10
	s_add_u32 s82, s20, s12
	s_mul_i32 s0, s43, s25
	s_mul_hi_u32 s1, s43, s24
	s_addc_u32 s83, s19, s10
	s_and_b32 s19, s82, 0x3ffffff
	s_lshl_b64 s[84:85], s[6:7], 10
	s_add_i32 s1, s1, s0
	s_lshr_b64 s[82:83], s[82:83], 26
	s_add_u32 s0, s50, s49
	s_addc_u32 s6, s48, s41
	s_add_u32 s0, s0, s26
	s_mul_i32 s2, s11, s35
	s_addc_u32 s3, s6, s3
	s_mul_hi_u32 s16, s11, s35
	s_add_u32 s0, s0, s2
	s_addc_u32 s2, s3, s16
	s_add_u32 s48, s0, s80
	s_addc_u32 s49, s2, s81
	s_mul_i32 s14, s43, s24
	s_mul_hi_u32 s22, s5, s5
	s_mul_i32 s5, s5, s5
	s_and_b32 s6, s48, 0x3ffffff
	s_lshr_b64 s[48:49], s[48:49], 26
	s_add_u32 s3, s14, s5
	s_addc_u32 s1, s1, s22
	s_add_u32 s3, s3, s84
	s_mul_i32 s2, s6, 0x3d10
	s_addc_u32 s1, s1, s85
	s_mul_hi_u32 s0, s6, 0x3d10
	s_add_u32 s2, s3, s2
	s_addc_u32 s0, s1, s0
	s_add_u32 s80, s2, s82
	s_addc_u32 s81, s0, s83
	s_lshl_b32 s1, s46, 1
	s_mul_i32 s28, s37, s25
	s_mul_hi_u32 s30, s37, s24
	s_and_b32 s1, s1, 0x7fffffe
	s_mul_hi_u32 s45, s17, s17
	s_mul_i32 s47, s17, s17
	s_mul_hi_u32 s71, s17, s43
	s_mul_i32 s68, s17, s43
	;; [unrolled: 2-line block ×3, first 2 shown]
	s_and_b32 s27, s80, 0x3ffffff
	s_lshl_b64 s[82:83], s[6:7], 10
	s_and_b32 s0, s40, 0x3ffffff
	s_add_i32 s30, s30, s28
	s_lshr_b64 s[40:41], s[80:81], 26
	s_mul_hi_u32 s6, s1, s17
	s_mul_i32 s17, s1, s17
	s_add_u32 s17, s72, s17
	s_addc_u32 s6, s56, s6
	s_add_u32 s4, s17, s4
	s_addc_u32 s6, s6, s36
	;; [unrolled: 2-line block ×3, first 2 shown]
	s_mul_i32 s34, s37, s24
	s_mul_i32 s3, s0, s43
	s_and_b32 s6, s48, 0x3ffffff
	s_lshr_b64 s[48:49], s[48:49], 26
	s_mul_hi_u32 s2, s0, s43
	s_add_u32 s3, s3, s34
	s_addc_u32 s2, s2, s30
	s_add_u32 s3, s3, s82
	s_mul_i32 s17, s6, 0x3d10
	s_addc_u32 s2, s2, s83
	s_mul_hi_u32 s4, s6, 0x3d10
	s_add_u32 s3, s3, s17
	s_addc_u32 s2, s2, s4
	s_mul_i32 s31, s24, s25
	s_mul_hi_u32 s39, s24, s24
	s_add_u32 s40, s3, s40
	s_addc_u32 s41, s2, s41
	s_add_i32 s3, s39, s31
	s_mul_i32 s22, s13, s1
	s_lshl_b64 s[80:81], s[6:7], 10
	s_and_b32 s2, s38, 0x3ffffff
	s_lshr_b64 s[38:39], s[40:41], 26
	s_add_i32 s3, s3, s31
	s_mul_hi_u32 s20, s13, s1
	s_add_u32 s6, s22, s47
	s_addc_u32 s20, s20, s45
	s_add_u32 s6, s6, s87
	s_addc_u32 s20, s20, s86
	;; [unrolled: 2-line block ×3, first 2 shown]
	s_mul_i32 s29, s24, s24
	s_mul_i32 s10, s0, s37
	s_and_b32 s6, s46, 0x3ffffff
	s_lshr_b64 s[46:47], s[46:47], 26
	s_mul_hi_u32 s5, s0, s37
	s_add_u32 s10, s10, s29
	s_mul_i32 s17, s2, s43
	s_addc_u32 s3, s5, s3
	s_mul_hi_u32 s4, s2, s43
	s_add_u32 s5, s10, s17
	s_addc_u32 s3, s3, s4
	s_add_u32 s4, s5, s80
	s_mul_i32 s22, s6, 0x3d10
	s_addc_u32 s3, s3, s81
	s_mul_hi_u32 s20, s6, 0x3d10
	s_add_u32 s4, s4, s22
	s_addc_u32 s3, s3, s20
	s_add_u32 s38, s4, s38
	s_addc_u32 s39, s3, s39
	s_lshl_b32 s3, s44, 1
	s_and_b32 s3, s3, 0x7fffffe
	s_mul_hi_u32 s23, s11, s1
	s_mul_i32 s1, s11, s1
	s_lshl_b64 s[48:49], s[6:7], 10
	s_lshr_b64 s[44:45], s[38:39], 26
	s_mul_i32 s5, s3, s13
	s_mul_hi_u32 s4, s3, s13
	s_add_u32 s1, s1, s5
	s_addc_u32 s4, s23, s4
	s_add_u32 s46, s1, s46
	s_addc_u32 s47, s4, s47
	s_mul_i32 s14, s15, s0
	s_mul_i32 s28, s2, s37
	s_and_b32 s6, s46, 0x3ffffff
	s_lshr_b64 s[46:47], s[46:47], 26
	s_mul_hi_u32 s12, s15, s0
	s_mul_hi_u32 s26, s2, s37
	s_add_u32 s5, s28, s14
	s_addc_u32 s12, s26, s12
	s_add_u32 s5, s5, s79
	s_addc_u32 s12, s12, s78
	s_add_u32 s5, s5, s48
	s_mul_i32 s4, s6, 0x3d10
	s_addc_u32 s12, s12, s49
	s_mul_hi_u32 s1, s6, 0x3d10
	s_add_u32 s4, s5, s4
	s_addc_u32 s1, s12, s1
	s_add_u32 s48, s4, s44
	s_addc_u32 s49, s1, s45
	s_mul_i32 s55, s13, s13
	s_mul_hi_u32 s10, s11, s3
	s_mul_i32 s3, s11, s3
	s_lshl_b64 s[44:45], s[6:7], 10
	s_lshr_b64 s[78:79], s[48:49], 26
	s_mul_hi_u32 s54, s13, s13
	s_add_u32 s1, s3, s55
	s_addc_u32 s3, s10, s54
	s_add_u32 s46, s1, s46
	s_addc_u32 s47, s3, s47
	s_mul_hi_u32 s16, s0, s0
	s_mul_i32 s0, s0, s0
	s_mul_hi_u32 s30, s2, s15
	s_mul_i32 s15, s2, s15
	s_and_b32 s6, s46, 0x3ffffff
	s_lshr_b64 s[54:55], s[46:47], 26
	s_add_u32 s0, s15, s0
	s_addc_u32 s4, s30, s16
	s_add_u32 s0, s0, s77
	s_addc_u32 s4, s4, s76
	;; [unrolled: 2-line block ×3, first 2 shown]
	s_add_u32 s0, s0, s44
	s_mul_i32 s3, s6, 0x3d10
	s_addc_u32 s4, s4, s45
	s_mul_hi_u32 s1, s6, 0x3d10
	s_add_u32 s0, s0, s3
	s_addc_u32 s1, s4, s1
	s_add_u32 s46, s0, s78
	s_addc_u32 s47, s1, s79
	s_lshl_b32 s0, s42, 1
	s_and_b32 s0, s0, 0x7fffffe
	s_mul_hi_u32 s24, s13, s43
	s_mul_i32 s25, s13, s43
	s_lshl_b64 s[44:45], s[6:7], 10
	s_lshr_b64 s[42:43], s[46:47], 26
	s_mul_hi_u32 s1, s0, s11
	s_mul_i32 s0, s0, s11
	s_add_u32 s54, s54, s0
	s_addc_u32 s55, s55, s1
	s_mul_hi_u32 s31, s35, s2
	s_mul_i32 s35, s35, s2
	s_and_b32 s6, s54, 0x3ffffff
	s_lshr_b64 s[54:55], s[54:55], 26
	s_add_u32 s3, s60, s35
	s_addc_u32 s4, s57, s31
	s_add_u32 s3, s3, s74
	s_addc_u32 s4, s4, s21
	;; [unrolled: 2-line block ×3, first 2 shown]
	s_add_u32 s3, s3, s44
	s_mul_i32 s1, s6, 0x3d10
	s_addc_u32 s4, s4, s45
	s_mul_hi_u32 s0, s6, 0x3d10
	s_add_u32 s1, s3, s1
	s_addc_u32 s0, s4, s0
	s_add_u32 s44, s1, s42
	s_addc_u32 s45, s0, s43
	s_mul_i32 s62, s11, s11
	s_lshl_b64 s[42:43], s[6:7], 10
	s_lshr_b64 s[56:57], s[44:45], 26
	s_mul_hi_u32 s61, s11, s11
	s_add_u32 s54, s54, s62
	s_addc_u32 s55, s55, s61
	s_mul_hi_u32 s34, s2, s2
	s_mul_i32 s2, s2, s2
	s_and_b32 s6, s54, 0x3ffffff
	s_lshr_b64 s[60:61], s[54:55], 26
	s_add_u32 s2, s73, s2
	s_addc_u32 s5, s63, s34
	s_add_u32 s2, s2, s53
	s_addc_u32 s5, s5, s51
	;; [unrolled: 2-line block ×4, first 2 shown]
	s_add_u32 s2, s2, s42
	s_mul_i32 s1, s6, 0x3d10
	s_addc_u32 s5, s5, s43
	s_mul_hi_u32 s0, s6, 0x3d10
	s_add_u32 s1, s2, s1
	s_addc_u32 s0, s5, s0
	s_add_u32 s42, s1, s56
	s_addc_u32 s43, s0, s57
	s_mul_i32 s4, s60, 0x3d10
	s_lshl_b64 s[24:25], s[6:7], 10
	s_lshr_b64 s[50:51], s[42:43], 26
	s_mul_hi_u32 s3, s60, 0x3d10
	s_add_u32 s0, s4, s52
	s_addc_u32 s1, s3, 0
	s_add_u32 s0, s0, s24
	s_addc_u32 s1, s1, s25
	;; [unrolled: 2-line block ×3, first 2 shown]
	s_lshl_b64 s[24:25], s[60:61], 14
	s_lshr_b64 s[50:51], s[54:55], 22
	s_add_u32 s24, s50, s24
	s_addc_u32 s25, s51, s25
	s_mul_hi_u32 s0, s24, 0x3d1
	s_mul_i32 s2, s25, 0x3d1
	s_mul_i32 s1, s24, 0x3d1
	s_add_i32 s0, s0, s2
	s_add_u32 s52, s1, s69
	s_addc_u32 s53, s0, 0
	s_lshl_b64 s[24:25], s[24:25], 6
	s_lshr_b64 s[50:51], s[52:53], 26
	s_add_u32 s0, s24, s19
	s_addc_u32 s1, s25, 0
	s_add_u32 s50, s0, s50
	s_addc_u32 s51, s1, s51
	s_lshr_b64 s[24:25], s[50:51], 26
	s_add_u32 s24, s24, s27
	s_addc_u32 s25, s25, 0
	s_add_i32 s59, s59, -1
	s_cmp_lg_u32 s59, 0
	s_cbranch_scc1 .LBB0_15
; %bb.16:
	v_readlane_b32 s4, v14, 2
	v_readlane_b32 s5, v14, 3
	s_and_b32 s37, s4, 0x3ffffff
	v_readlane_b32 s6, v14, 0
	v_readlane_b32 s10, v15, 62
	s_and_b32 s44, s44, 0x3ffffff
	v_readlane_b32 s0, v14, 6
	v_readlane_b32 s2, v14, 4
	s_mul_i32 s4, s25, s37
	s_mul_hi_u32 s5, s24, s37
	s_and_b32 s36, s40, 0x3ffffff
	v_readlane_b32 s7, v14, 1
	s_and_b32 s39, s6, 0x3ffffff
	s_and_b32 s38, s38, 0x3ffffff
	v_readlane_b32 s11, v15, 63
	s_and_b32 s43, s10, 0x3ffffff
	v_readlane_b32 s12, v15, 56
	v_readlane_b32 s14, v15, 52
	s_mul_i32 s16, s44, s9
	s_mul_hi_u32 s17, s44, s8
	v_readlane_b32 s20, v15, 60
	v_readlane_b32 s22, v15, 58
	s_and_b32 s31, s52, 0x3ffffff
	s_and_b32 s29, s0, 0x3fffff
	;; [unrolled: 1-line block ×4, first 2 shown]
	s_add_i32 s5, s5, s4
	s_mul_i32 s7, s36, s39
	s_mul_i32 s11, s38, s43
	s_and_b32 s40, s48, 0x3ffffff
	s_and_b32 s45, s12, 0x3ffffff
	;; [unrolled: 1-line block ×4, first 2 shown]
	s_add_i32 s17, s17, s16
	s_and_b32 s42, s42, 0x3ffffff
	s_and_b32 s47, s20, 0x3ffffff
	;; [unrolled: 1-line block ×4, first 2 shown]
	s_mul_hi_u32 s6, s36, s39
	s_mul_hi_u32 s10, s38, s43
	v_readlane_b32 s13, v15, 57
	s_add_u32 s7, s11, s7
	s_mul_i32 s13, s40, s45
	s_addc_u32 s6, s10, s6
	s_mul_hi_u32 s12, s40, s45
	v_readlane_b32 s15, v15, 53
	s_add_u32 s7, s7, s13
	s_mul_i32 s15, s41, s46
	s_addc_u32 s6, s6, s12
	s_mul_hi_u32 s14, s41, s46
	s_add_u32 s7, s7, s15
	s_mul_i32 s16, s44, s8
	s_addc_u32 s6, s6, s14
	s_add_u32 s7, s7, s16
	s_mul_i32 s20, s42, s47
	s_addc_u32 s6, s6, s17
	s_mul_hi_u32 s19, s42, s47
	s_add_u32 s7, s7, s20
	v_readlane_b32 s21, v15, 61
	s_mul_i32 s22, s34, s48
	s_addc_u32 s6, s6, s19
	v_readlane_b32 s1, v14, 7
	s_mul_hi_u32 s21, s34, s48
	s_add_u32 s7, s7, s22
	s_mul_i32 s1, s31, s29
	s_addc_u32 s6, s6, s21
	s_mul_hi_u32 s0, s31, s29
	v_readlane_b32 s3, v14, 5
	s_add_u32 s1, s7, s1
	s_mul_i32 s3, s35, s30
	s_addc_u32 s0, s6, s0
	s_mul_hi_u32 s2, s35, s30
	s_add_u32 s1, s1, s3
	s_mul_i32 s4, s24, s37
	s_addc_u32 s0, s0, s2
	v_readlane_b32 s23, v15, 59
	s_add_u32 s10, s1, s4
	s_addc_u32 s11, s0, s5
	s_mul_i32 s4, s25, s30
	s_mul_hi_u32 s5, s24, s30
	s_mul_i32 s22, s42, s9
	s_mul_hi_u32 s23, s42, s8
	s_and_b32 s28, s10, 0x3ffffff
	s_lshr_b64 s[10:11], s[10:11], 26
	s_add_i32 s5, s5, s4
	s_mul_i32 s12, s36, s37
	s_mul_i32 s14, s38, s39
	s_add_i32 s23, s23, s22
	s_mul_hi_u32 s6, s36, s37
	s_mul_hi_u32 s13, s38, s39
	s_add_u32 s12, s14, s12
	s_mul_i32 s16, s40, s43
	s_addc_u32 s6, s13, s6
	s_mul_hi_u32 s15, s40, s43
	s_add_u32 s12, s12, s16
	s_mul_i32 s19, s41, s45
	s_addc_u32 s6, s6, s15
	;; [unrolled: 4-line block ×4, first 2 shown]
	s_add_u32 s12, s12, s22
	s_mul_i32 s27, s34, s47
	s_addc_u32 s6, s6, s23
	s_mul_hi_u32 s26, s34, s47
	s_add_u32 s12, s12, s27
	s_mul_i32 s3, s35, s29
	s_addc_u32 s6, s6, s26
	s_mul_hi_u32 s2, s35, s29
	s_add_u32 s3, s12, s3
	s_mul_i32 s4, s24, s30
	s_addc_u32 s2, s6, s2
	s_add_u32 s3, s3, s4
	s_addc_u32 s2, s2, s5
	s_add_u32 s10, s3, s10
	s_addc_u32 s11, s2, s11
	s_and_b32 s6, s10, 0x3ffffff
	s_mul_i32 s1, s31, s48
	s_lshr_b64 s[10:11], s[10:11], 26
	s_mul_i32 s3, s6, 0x3d10
	s_mul_hi_u32 s0, s31, s48
	s_mul_hi_u32 s2, s6, 0x3d10
	s_add_u32 s12, s3, s1
	s_mov_b32 s7, 0
	s_addc_u32 s13, s2, s0
	s_mul_i32 s4, s25, s29
	s_mul_hi_u32 s5, s24, s29
	s_mul_i32 s52, s34, s9
	s_mul_hi_u32 s53, s34, s8
	s_and_b32 s49, s12, 0x3ffffff
	s_lshr_b64 s[12:13], s[12:13], 26
	s_lshl_b64 s[14:15], s[6:7], 10
	s_add_i32 s5, s5, s4
	s_mul_i32 s16, s36, s30
	s_mul_i32 s19, s38, s37
	s_add_i32 s53, s53, s52
	s_mul_hi_u32 s6, s36, s30
	s_mul_hi_u32 s17, s38, s37
	s_add_u32 s16, s19, s16
	s_mul_i32 s21, s40, s39
	s_addc_u32 s6, s17, s6
	s_mul_hi_u32 s20, s40, s39
	s_add_u32 s16, s16, s21
	s_mul_i32 s23, s41, s43
	s_addc_u32 s6, s6, s20
	;; [unrolled: 4-line block ×5, first 2 shown]
	s_add_u32 s16, s16, s52
	s_mul_i32 s4, s24, s29
	s_addc_u32 s6, s6, s53
	s_add_u32 s4, s16, s4
	s_addc_u32 s5, s6, s5
	s_add_u32 s10, s4, s10
	s_addc_u32 s11, s5, s11
	s_mul_i32 s1, s31, s47
	s_mul_i32 s3, s35, s48
	s_and_b32 s6, s10, 0x3ffffff
	s_lshr_b64 s[10:11], s[10:11], 26
	s_mul_hi_u32 s0, s31, s47
	s_mul_hi_u32 s2, s35, s48
	s_add_u32 s1, s3, s1
	s_addc_u32 s0, s2, s0
	s_add_u32 s1, s1, s14
	s_addc_u32 s0, s0, s15
	s_add_u32 s1, s1, s12
	s_mul_i32 s5, s6, 0x3d10
	s_addc_u32 s0, s0, s13
	s_mul_hi_u32 s4, s6, 0x3d10
	s_add_u32 s12, s1, s5
	s_addc_u32 s13, s0, s4
	s_mul_i32 s0, s31, s9
	s_mul_hi_u32 s1, s31, s8
	s_mul_i32 s4, s25, s48
	s_mul_hi_u32 s5, s24, s48
	s_and_b32 s50, s12, 0x3ffffff
	s_lshr_b64 s[12:13], s[12:13], 26
	s_lshl_b64 s[14:15], s[6:7], 10
	s_add_i32 s1, s1, s0
	s_add_i32 s5, s5, s4
	s_mul_i32 s16, s36, s29
	s_mul_i32 s19, s38, s30
	s_mul_hi_u32 s6, s36, s29
	s_mul_hi_u32 s17, s38, s30
	s_add_u32 s16, s19, s16
	s_mul_i32 s21, s40, s37
	s_addc_u32 s6, s17, s6
	s_mul_hi_u32 s20, s40, s37
	s_add_u32 s16, s16, s21
	s_mul_i32 s23, s41, s39
	s_addc_u32 s6, s6, s20
	;; [unrolled: 4-line block ×5, first 2 shown]
	s_mul_hi_u32 s53, s34, s46
	s_add_u32 s16, s16, s54
	s_addc_u32 s6, s6, s53
	s_add_u32 s10, s16, s10
	s_addc_u32 s11, s6, s11
	s_mul_i32 s0, s31, s8
	s_mul_i32 s3, s35, s47
	s_and_b32 s6, s10, 0x3ffffff
	s_lshr_b64 s[10:11], s[10:11], 26
	s_mul_hi_u32 s2, s35, s47
	s_add_u32 s0, s3, s0
	s_mul_i32 s4, s24, s48
	s_addc_u32 s1, s2, s1
	s_add_u32 s0, s0, s4
	s_addc_u32 s1, s1, s5
	s_add_u32 s0, s0, s14
	s_mul_i32 s17, s6, 0x3d10
	s_addc_u32 s1, s1, s15
	s_mul_hi_u32 s16, s6, 0x3d10
	s_add_u32 s0, s0, s17
	s_addc_u32 s1, s1, s16
	s_add_u32 s12, s0, s12
	s_addc_u32 s13, s1, s13
	s_mul_i32 s2, s35, s9
	s_mul_hi_u32 s3, s35, s8
	s_mul_i32 s4, s25, s47
	s_mul_hi_u32 s5, s24, s47
	s_and_b32 s51, s12, 0x3ffffff
	s_lshr_b64 s[12:13], s[12:13], 26
	s_lshl_b64 s[14:15], s[6:7], 10
	s_add_i32 s3, s3, s2
	s_add_i32 s5, s5, s4
	s_mul_i32 s16, s38, s29
	s_mul_i32 s21, s40, s30
	s_mul_hi_u32 s6, s38, s29
	s_mul_hi_u32 s17, s40, s30
	s_add_u32 s16, s21, s16
	s_mul_i32 s23, s41, s37
	s_addc_u32 s6, s17, s6
	s_mul_hi_u32 s22, s41, s37
	s_add_u32 s16, s16, s23
	s_mul_i32 s27, s44, s39
	s_addc_u32 s6, s6, s22
	;; [unrolled: 4-line block ×4, first 2 shown]
	s_mul_hi_u32 s54, s34, s45
	s_add_u32 s16, s16, s55
	s_addc_u32 s6, s6, s54
	s_add_u32 s10, s16, s10
	s_addc_u32 s11, s6, s11
	s_mul_i32 s1, s31, s46
	s_mul_i32 s20, s36, s48
	s_and_b32 s6, s10, 0x3ffffff
	s_lshr_b64 s[16:17], s[10:11], 26
	s_mul_hi_u32 s0, s31, s46
	s_mul_hi_u32 s19, s36, s48
	s_add_u32 s1, s1, s20
	s_mul_i32 s2, s35, s8
	s_addc_u32 s0, s0, s19
	s_add_u32 s1, s1, s2
	s_mul_i32 s4, s24, s47
	s_addc_u32 s0, s0, s3
	s_add_u32 s1, s1, s4
	s_addc_u32 s0, s0, s5
	s_add_u32 s1, s1, s14
	s_mul_i32 s11, s6, 0x3d10
	s_addc_u32 s0, s0, s15
	s_mul_hi_u32 s10, s6, 0x3d10
	s_add_u32 s1, s1, s11
	s_addc_u32 s0, s0, s10
	s_add_u32 s10, s1, s12
	s_mul_i32 s4, s24, s9
	s_mul_hi_u32 s5, s24, s8
	s_addc_u32 s11, s0, s13
	s_add_i32 s4, s5, s4
	s_mul_i32 s5, s25, s8
	s_lshr_b64 s[12:13], s[10:11], 26
	s_lshl_b64 s[14:15], s[6:7], 10
	s_add_i32 s4, s4, s5
	s_mul_i32 s22, s40, s29
	s_mul_i32 s26, s41, s30
	s_mul_hi_u32 s6, s40, s29
	s_mul_hi_u32 s23, s41, s30
	s_add_u32 s22, s26, s22
	s_mul_i32 s52, s44, s37
	s_addc_u32 s6, s23, s6
	s_mul_hi_u32 s27, s44, s37
	s_add_u32 s22, s22, s52
	s_mul_i32 s54, s42, s39
	s_addc_u32 s6, s6, s27
	;; [unrolled: 4-line block ×3, first 2 shown]
	s_mul_hi_u32 s55, s34, s43
	s_add_u32 s22, s22, s56
	s_addc_u32 s6, s6, s55
	s_add_u32 s16, s22, s16
	s_addc_u32 s17, s6, s17
	s_mul_i32 s19, s36, s47
	s_mul_i32 s21, s38, s48
	s_and_b32 s6, s16, 0x3ffffff
	s_lshr_b64 s[16:17], s[16:17], 26
	s_mul_hi_u32 s11, s36, s47
	s_mul_hi_u32 s20, s38, s48
	s_add_u32 s19, s21, s19
	s_mul_i32 s1, s31, s45
	s_addc_u32 s11, s20, s11
	s_mul_hi_u32 s0, s31, s45
	s_add_u32 s1, s19, s1
	s_mul_i32 s3, s35, s46
	s_addc_u32 s0, s11, s0
	;; [unrolled: 4-line block ×3, first 2 shown]
	s_add_u32 s1, s1, s5
	s_addc_u32 s0, s0, s4
	s_add_u32 s1, s1, s14
	s_mul_i32 s23, s6, 0x3d10
	s_addc_u32 s0, s0, s15
	s_mul_hi_u32 s22, s6, 0x3d10
	s_add_u32 s1, s1, s23
	s_addc_u32 s0, s0, s22
	s_add_u32 s12, s1, s12
	s_addc_u32 s13, s0, s13
	s_lshl_b64 s[26:27], s[6:7], 10
	s_mul_i32 s4, s25, s46
	s_mul_hi_u32 s5, s24, s46
	s_mul_i32 s6, s36, s9
	s_mul_hi_u32 s11, s36, s8
	s_lshr_b64 s[14:15], s[12:13], 26
	s_add_i32 s5, s5, s4
	s_add_i32 s11, s11, s6
	s_mul_i32 s23, s41, s29
	s_mul_i32 s53, s44, s30
	s_mul_hi_u32 s6, s41, s29
	s_mul_hi_u32 s52, s44, s30
	s_add_u32 s23, s53, s23
	s_mul_i32 s55, s42, s37
	s_addc_u32 s6, s52, s6
	s_mul_hi_u32 s54, s42, s37
	s_add_u32 s23, s23, s55
	s_mul_i32 s57, s34, s39
	s_addc_u32 s6, s6, s54
	s_mul_hi_u32 s56, s34, s39
	s_add_u32 s23, s23, s57
	s_addc_u32 s6, s6, s56
	s_add_u32 s16, s23, s16
	s_addc_u32 s17, s6, s17
	s_mul_i32 s13, s36, s8
	s_mul_i32 s20, s38, s47
	s_and_b32 s6, s16, 0x3ffffff
	s_lshr_b64 s[16:17], s[16:17], 26
	s_mul_hi_u32 s19, s38, s47
	s_add_u32 s13, s20, s13
	s_mul_i32 s22, s40, s48
	s_addc_u32 s11, s19, s11
	s_mul_hi_u32 s21, s40, s48
	s_add_u32 s13, s13, s22
	s_mul_i32 s1, s31, s43
	s_addc_u32 s11, s11, s21
	;; [unrolled: 4-line block ×4, first 2 shown]
	s_add_u32 s1, s1, s4
	s_addc_u32 s0, s0, s5
	s_add_u32 s1, s1, s26
	s_mul_i32 s52, s6, 0x3d10
	s_addc_u32 s0, s0, s27
	s_mul_hi_u32 s23, s6, 0x3d10
	s_add_u32 s1, s1, s52
	s_addc_u32 s0, s0, s23
	s_add_u32 s14, s1, s14
	s_addc_u32 s15, s0, s15
	s_lshr_b64 s[26:27], s[14:15], 26
	s_lshl_b64 s[52:53], s[6:7], 10
	s_mul_i32 s4, s25, s45
	s_mul_hi_u32 s5, s24, s45
	s_mul_i32 s6, s38, s9
	s_mul_hi_u32 s15, s38, s8
	s_add_i32 s5, s5, s4
	s_add_i32 s15, s15, s6
	s_mul_i32 s54, s44, s29
	s_mul_i32 s56, s42, s30
	s_mul_hi_u32 s6, s44, s29
	s_mul_hi_u32 s55, s42, s30
	s_add_u32 s54, s56, s54
	s_mul_i32 s58, s34, s37
	s_addc_u32 s6, s55, s6
	s_mul_hi_u32 s57, s34, s37
	s_add_u32 s54, s54, s58
	s_addc_u32 s6, s6, s57
	s_add_u32 s16, s54, s16
	s_addc_u32 s17, s6, s17
	s_mul_i32 s13, s36, s46
	s_mul_i32 s19, s38, s8
	s_and_b32 s6, s16, 0x3ffffff
	s_lshr_b64 s[54:55], s[16:17], 26
	s_mul_hi_u32 s11, s36, s46
	s_add_u32 s13, s19, s13
	s_mul_i32 s21, s40, s47
	s_addc_u32 s11, s15, s11
	s_mul_hi_u32 s20, s40, s47
	s_add_u32 s13, s13, s21
	s_mul_i32 s23, s41, s48
	s_addc_u32 s11, s11, s20
	;; [unrolled: 4-line block ×5, first 2 shown]
	s_add_u32 s1, s1, s4
	s_addc_u32 s0, s0, s5
	s_add_u32 s1, s1, s52
	s_mul_i32 s17, s6, 0x3d10
	s_addc_u32 s0, s0, s53
	s_mul_hi_u32 s16, s6, 0x3d10
	s_add_u32 s1, s1, s17
	s_addc_u32 s0, s0, s16
	s_add_u32 s16, s1, s26
	s_addc_u32 s17, s0, s27
	s_lshl_b64 s[52:53], s[6:7], 10
	s_mul_i32 s4, s25, s43
	s_mul_hi_u32 s5, s24, s43
	s_mul_i32 s6, s40, s9
	s_mul_hi_u32 s19, s40, s8
	s_lshr_b64 s[26:27], s[16:17], 26
	s_add_i32 s5, s5, s4
	s_add_i32 s19, s19, s6
	s_mul_i32 s57, s42, s29
	s_mul_i32 s59, s34, s30
	s_mul_hi_u32 s6, s42, s29
	s_mul_hi_u32 s58, s34, s30
	s_add_u32 s57, s59, s57
	s_addc_u32 s6, s58, s6
	s_add_u32 s54, s57, s54
	s_addc_u32 s55, s6, s55
	s_mul_i32 s13, s36, s45
	s_mul_i32 s17, s38, s46
	s_and_b32 s6, s54, 0x3ffffff
	s_lshr_b64 s[54:55], s[54:55], 26
	s_mul_hi_u32 s11, s36, s45
	s_mul_hi_u32 s15, s38, s46
	s_add_u32 s13, s17, s13
	s_mul_i32 s20, s40, s8
	s_addc_u32 s11, s15, s11
	s_add_u32 s13, s13, s20
	s_mul_i32 s22, s41, s47
	s_addc_u32 s11, s11, s19
	s_mul_hi_u32 s21, s41, s47
	s_add_u32 s13, s13, s22
	s_mul_i32 s56, s44, s48
	s_addc_u32 s11, s11, s21
	s_mul_hi_u32 s23, s44, s48
	;; [unrolled: 4-line block ×4, first 2 shown]
	s_add_u32 s1, s1, s3
	s_mul_i32 s4, s24, s43
	s_addc_u32 s0, s0, s2
	s_add_u32 s1, s1, s4
	s_addc_u32 s0, s0, s5
	s_add_u32 s1, s1, s52
	s_mul_i32 s58, s6, 0x3d10
	s_addc_u32 s0, s0, s53
	s_mul_hi_u32 s57, s6, 0x3d10
	s_add_u32 s1, s1, s58
	s_addc_u32 s0, s0, s57
	s_add_u32 s26, s1, s26
	s_addc_u32 s27, s0, s27
	s_lshl_b64 s[56:57], s[6:7], 10
	s_mul_i32 s2, s25, s39
	s_mul_hi_u32 s3, s24, s39
	s_mul_i32 s6, s41, s9
	s_mul_hi_u32 s9, s41, s8
	s_lshr_b64 s[52:53], s[26:27], 26
	s_add_i32 s3, s3, s2
	s_add_i32 s13, s9, s6
	s_mul_hi_u32 s6, s34, s29
	s_mul_i32 s34, s34, s29
	s_mul_i32 s41, s41, s8
	s_add_u32 s8, s54, s34
	s_addc_u32 s9, s55, s6
	s_mul_i32 s2, s24, s39
	s_mul_hi_u32 s4, s36, s43
	s_mul_i32 s36, s36, s43
	s_mul_hi_u32 s5, s38, s45
	s_mul_i32 s38, s38, s45
	s_and_b32 s6, s8, 0x3ffffff
	s_lshr_b64 s[24:25], s[8:9], 26
	s_add_u32 s19, s38, s36
	s_mul_hi_u32 s11, s40, s46
	s_mul_i32 s40, s40, s46
	s_addc_u32 s4, s5, s4
	s_add_u32 s5, s19, s40
	s_addc_u32 s4, s4, s11
	s_add_u32 s5, s5, s41
	s_mul_hi_u32 s15, s44, s47
	s_mul_i32 s44, s44, s47
	s_addc_u32 s4, s4, s13
	s_add_u32 s5, s5, s44
	s_mul_hi_u32 s17, s42, s48
	s_mul_i32 s42, s42, s48
	;; [unrolled: 4-line block ×4, first 2 shown]
	s_addc_u32 s0, s4, s0
	s_add_u32 s4, s5, s35
	s_addc_u32 s0, s0, s1
	s_add_u32 s1, s4, s2
	;; [unrolled: 2-line block ×3, first 2 shown]
	s_mul_i32 s9, s6, 0x3d10
	s_addc_u32 s0, s0, s57
	s_mul_hi_u32 s8, s6, 0x3d10
	s_add_u32 s1, s1, s9
	s_addc_u32 s0, s0, s8
	s_add_u32 s8, s1, s52
	s_addc_u32 s9, s0, s53
	s_lshr_b64 s[30:31], s[8:9], 26
	s_lshl_b64 s[34:35], s[6:7], 10
	s_mul_i32 s1, s24, 0x3d10
	s_mul_hi_u32 s0, s24, 0x3d10
	s_add_u32 s1, s1, s28
	s_addc_u32 s0, s0, 0
	s_add_u32 s1, s1, s34
	s_addc_u32 s0, s0, s35
	;; [unrolled: 2-line block ×3, first 2 shown]
	s_lshr_b64 s[28:29], s[30:31], 22
	s_lshl_b64 s[24:25], s[24:25], 14
	s_add_u32 s24, s28, s24
	s_addc_u32 s25, s29, s25
	s_mul_i32 s0, s25, 0x3d1
	s_mul_hi_u32 s1, s24, 0x3d1
	s_add_i32 s1, s1, s0
	s_mul_i32 s0, s24, 0x3d1
	s_add_u32 s28, s0, s49
	s_addc_u32 s29, s1, 0
	s_lshr_b64 s[34:35], s[28:29], 26
	s_lshl_b64 s[24:25], s[24:25], 6
	s_add_u32 s0, s24, s50
	s_addc_u32 s1, s25, 0
	s_add_u32 s24, s0, s34
	s_addc_u32 s25, s1, s35
	s_lshr_b64 s[34:35], s[24:25], 26
	s_add_u32 s25, s34, s51
	s_addc_u32 s27, s35, 0
	s_mov_b32 s34, 44
.LBB0_17:                               ; =>This Inner Loop Header: Depth=1
	s_lshl_b32 s21, s24, 1
	s_lshl_b32 s31, s10, 1
	;; [unrolled: 1-line block ×4, first 2 shown]
	s_and_b32 s17, s16, 0x3ffffff
	s_and_b32 s6, s14, 0x3ffffff
	;; [unrolled: 1-line block ×7, first 2 shown]
	s_lshl_b32 s13, s25, 1
	s_and_b32 s11, s26, 0x3ffffff
	s_and_b32 s37, s19, 0x7fffffe
	s_mul_i32 s5, s17, s31
	s_mul_i32 s22, s21, s6
	s_mul_hi_u32 s4, s17, s31
	s_mul_hi_u32 s20, s21, s6
	s_add_u32 s5, s5, s22
	s_mul_i32 s53, s11, s13
	s_addc_u32 s4, s4, s20
	s_mul_hi_u32 s55, s11, s13
	s_add_u32 s5, s5, s53
	s_mul_i32 s3, s15, s35
	s_addc_u32 s4, s4, s55
	s_mul_hi_u32 s2, s15, s35
	s_add_u32 s3, s5, s3
	s_mul_i32 s1, s9, s37
	s_addc_u32 s2, s4, s2
	s_mul_hi_u32 s0, s9, s37
	s_add_u32 s70, s3, s1
	s_addc_u32 s71, s2, s0
	s_mul_i32 s19, s6, s6
	s_mul_i32 s75, s17, s21
	s_and_b32 s0, s28, 0x3ffffff
	s_and_b32 s28, s70, 0x3fffffe
	s_lshr_b64 s[70:71], s[70:71], 26
	s_mul_hi_u32 s56, s6, s6
	s_mul_hi_u32 s74, s17, s21
	s_add_u32 s2, s75, s19
	s_mul_i32 s73, s11, s31
	s_addc_u32 s3, s74, s56
	s_mul_hi_u32 s72, s11, s31
	s_add_u32 s2, s2, s73
	s_mul_i32 s59, s15, s13
	s_addc_u32 s3, s3, s72
	;; [unrolled: 4-line block ×3, first 2 shown]
	s_mul_hi_u32 s23, s9, s35
	s_add_u32 s2, s2, s69
	s_addc_u32 s3, s3, s23
	s_add_u32 s70, s2, s70
	s_mul_hi_u32 s44, s6, s13
	s_mul_i32 s45, s6, s13
	s_mul_hi_u32 s67, s6, s37
	s_mul_i32 s68, s6, s37
	;; [unrolled: 2-line block ×4, first 2 shown]
	s_addc_u32 s71, s3, s71
	s_and_b32 s6, s70, 0x3ffffff
	s_mul_hi_u32 s1, s0, s0
	s_mul_i32 s0, s0, s0
	s_lshr_b64 s[70:71], s[70:71], 26
	s_mul_i32 s3, s6, 0x3d10
	s_mul_hi_u32 s2, s6, 0x3d10
	s_add_u32 s72, s3, s0
	s_addc_u32 s73, s2, s1
	s_lshl_b32 s1, s14, 1
	s_and_b32 s1, s1, 0x7fffffe
	s_mul_i32 s79, s11, s21
	s_and_b32 s54, s72, 0x3fffffd
	s_lshl_b64 s[74:75], s[6:7], 10
	s_and_b32 s0, s24, 0x3ffffff
	s_lshr_b64 s[72:73], s[72:73], 26
	s_mul_i32 s6, s1, s17
	s_mul_hi_u32 s78, s11, s21
	s_mul_hi_u32 s5, s1, s17
	s_add_u32 s6, s79, s6
	s_mul_i32 s77, s15, s31
	s_addc_u32 s5, s78, s5
	s_mul_hi_u32 s76, s15, s31
	s_add_u32 s6, s6, s77
	s_mul_i32 s51, s9, s13
	s_addc_u32 s5, s5, s76
	s_mul_hi_u32 s50, s9, s13
	s_add_u32 s6, s6, s51
	s_addc_u32 s5, s5, s50
	s_add_u32 s50, s6, s70
	s_addc_u32 s51, s5, s71
	s_mul_i32 s3, s37, s0
	s_and_b32 s6, s50, 0x3ffffff
	s_lshr_b64 s[50:51], s[50:51], 26
	s_mul_hi_u32 s2, s37, s0
	s_add_u32 s3, s74, s3
	s_addc_u32 s2, s75, s2
	s_add_u32 s3, s3, s72
	s_mul_i32 s19, s6, 0x3d10
	s_addc_u32 s2, s2, s73
	s_mul_hi_u32 s5, s6, 0x3d10
	s_add_u32 s70, s3, s19
	s_mul_i32 s80, s37, s27
	s_mul_hi_u32 s81, s37, s25
	s_addc_u32 s71, s2, s5
	s_mul_hi_u32 s48, s17, s17
	s_mul_i32 s49, s17, s17
	s_mul_hi_u32 s40, s17, s13
	s_mul_i32 s41, s17, s13
	;; [unrolled: 2-line block ×6, first 2 shown]
	s_mul_i32 s17, s11, s1
	s_and_b32 s19, s70, 0x3ffffff
	s_lshl_b64 s[72:73], s[6:7], 10
	s_add_i32 s81, s81, s80
	s_lshr_b64 s[70:71], s[70:71], 26
	s_mul_hi_u32 s14, s11, s1
	s_add_u32 s2, s17, s49
	s_addc_u32 s3, s14, s48
	s_add_u32 s2, s2, s86
	s_mul_i32 s84, s9, s31
	s_addc_u32 s3, s3, s85
	s_mul_hi_u32 s83, s9, s31
	s_add_u32 s2, s2, s84
	s_addc_u32 s3, s3, s83
	s_add_u32 s48, s2, s50
	s_addc_u32 s49, s3, s51
	s_mul_i32 s82, s37, s25
	s_mul_hi_u32 s4, s0, s0
	s_mul_i32 s0, s0, s0
	s_and_b32 s6, s48, 0x3ffffff
	s_lshr_b64 s[50:51], s[48:49], 26
	s_add_u32 s0, s82, s0
	s_addc_u32 s4, s81, s4
	s_add_u32 s0, s0, s72
	s_mul_i32 s3, s6, 0x3d10
	s_addc_u32 s4, s4, s73
	s_mul_hi_u32 s2, s6, 0x3d10
	s_add_u32 s0, s0, s3
	s_addc_u32 s2, s4, s2
	s_add_u32 s70, s0, s70
	s_addc_u32 s71, s2, s71
	s_lshl_b32 s2, s16, 1
	s_mul_i32 s87, s35, s27
	s_mul_hi_u32 s88, s35, s25
	s_and_b32 s2, s2, 0x7fffffe
	s_mul_i32 s22, s15, s1
	s_and_b32 s48, s70, 0x3ffffff
	s_lshl_b64 s[72:73], s[6:7], 10
	s_and_b32 s0, s10, 0x3ffffff
	s_add_i32 s88, s88, s87
	s_lshr_b64 s[16:17], s[70:71], 26
	s_mul_i32 s10, s2, s11
	s_mul_hi_u32 s20, s15, s1
	s_mul_hi_u32 s6, s2, s11
	s_add_u32 s10, s22, s10
	s_addc_u32 s6, s20, s6
	s_add_u32 s10, s10, s91
	s_addc_u32 s6, s6, s90
	s_add_u32 s10, s10, s50
	s_mul_i32 s30, s25, s27
	s_mul_hi_u32 s38, s11, s11
	s_mul_i32 s39, s11, s11
	s_mul_hi_u32 s27, s11, s37
	;; [unrolled: 2-line block ×3, first 2 shown]
	s_mul_i32 s55, s11, s35
	s_addc_u32 s11, s6, s51
	s_mul_i32 s89, s35, s25
	s_mul_i32 s4, s0, s37
	s_and_b32 s6, s10, 0x3ffffff
	s_lshr_b64 s[50:51], s[10:11], 26
	s_mul_hi_u32 s3, s0, s37
	s_add_u32 s4, s4, s89
	s_addc_u32 s3, s3, s88
	s_add_u32 s4, s4, s72
	s_mul_i32 s11, s6, 0x3d10
	s_addc_u32 s3, s3, s73
	s_mul_hi_u32 s10, s6, 0x3d10
	s_add_u32 s4, s4, s11
	s_addc_u32 s3, s3, s10
	s_mul_hi_u32 s36, s25, s25
	s_add_u32 s10, s4, s16
	s_addc_u32 s11, s3, s17
	s_add_i32 s4, s36, s30
	s_mul_i32 s69, s15, s2
	s_lshl_b64 s[16:17], s[6:7], 10
	s_and_b32 s3, s12, 0x3ffffff
	s_lshr_b64 s[70:71], s[10:11], 26
	s_add_i32 s4, s4, s30
	s_mul_hi_u32 s59, s15, s2
	s_add_u32 s6, s69, s39
	s_mul_hi_u32 s23, s9, s1
	s_mul_i32 s1, s9, s1
	s_addc_u32 s12, s59, s38
	s_add_u32 s1, s6, s1
	s_addc_u32 s6, s12, s23
	s_add_u32 s12, s1, s50
	s_mul_hi_u32 s24, s13, s0
	s_mul_i32 s49, s13, s0
	s_mul_hi_u32 s72, s3, s13
	s_mul_i32 s73, s3, s13
	s_addc_u32 s13, s6, s51
	s_mul_i32 s29, s25, s25
	s_mul_i32 s14, s0, s35
	s_mul_hi_u32 s75, s31, s3
	s_mul_i32 s76, s31, s3
	s_and_b32 s6, s12, 0x3ffffff
	s_lshr_b64 s[30:31], s[12:13], 26
	s_mul_hi_u32 s5, s0, s35
	s_add_u32 s13, s14, s29
	s_mul_i32 s20, s3, s37
	s_addc_u32 s4, s5, s4
	s_mul_hi_u32 s11, s3, s37
	s_add_u32 s5, s13, s20
	s_addc_u32 s4, s4, s11
	s_add_u32 s5, s5, s16
	s_mul_i32 s12, s6, 0x3d10
	s_addc_u32 s4, s4, s17
	s_mul_hi_u32 s1, s6, 0x3d10
	s_add_u32 s5, s5, s12
	s_addc_u32 s1, s4, s1
	s_add_u32 s12, s5, s70
	s_addc_u32 s13, s1, s71
	s_lshl_b32 s1, s26, 1
	s_and_b32 s1, s1, 0x7fffffe
	s_mul_hi_u32 s25, s15, s37
	s_mul_i32 s52, s15, s37
	s_mul_hi_u32 s74, s9, s2
	s_mul_i32 s2, s9, s2
	s_lshl_b64 s[16:17], s[6:7], 10
	s_lshr_b64 s[36:37], s[12:13], 26
	s_mul_i32 s5, s1, s15
	s_mul_hi_u32 s4, s1, s15
	s_add_u32 s2, s2, s5
	s_addc_u32 s4, s74, s4
	s_add_u32 s14, s2, s30
	s_mul_hi_u32 s42, s15, s15
	s_mul_i32 s43, s15, s15
	s_addc_u32 s15, s4, s31
	s_mul_hi_u32 s22, s3, s35
	s_mul_i32 s35, s3, s35
	s_and_b32 s6, s14, 0x3ffffff
	s_lshr_b64 s[30:31], s[14:15], 26
	s_add_u32 s5, s35, s49
	s_addc_u32 s13, s22, s24
	s_add_u32 s5, s5, s68
	s_addc_u32 s13, s13, s67
	s_add_u32 s5, s5, s16
	s_mul_i32 s4, s6, 0x3d10
	s_addc_u32 s13, s13, s17
	s_mul_hi_u32 s2, s6, 0x3d10
	s_add_u32 s4, s5, s4
	s_addc_u32 s2, s13, s2
	s_add_u32 s14, s4, s36
	s_addc_u32 s15, s2, s37
	s_mul_hi_u32 s11, s9, s1
	s_mul_i32 s1, s9, s1
	s_lshl_b64 s[16:17], s[6:7], 10
	s_lshr_b64 s[36:37], s[14:15], 26
	s_add_u32 s1, s1, s43
	s_addc_u32 s2, s11, s42
	s_add_u32 s30, s1, s30
	s_addc_u32 s31, s2, s31
	s_mul_hi_u32 s56, s0, s0
	s_mul_i32 s0, s0, s0
	s_and_b32 s6, s30, 0x3ffffff
	s_lshr_b64 s[30:31], s[30:31], 26
	s_add_u32 s0, s73, s0
	s_addc_u32 s4, s72, s56
	s_add_u32 s0, s0, s66
	s_addc_u32 s4, s4, s65
	;; [unrolled: 2-line block ×3, first 2 shown]
	s_add_u32 s0, s0, s16
	s_mul_i32 s2, s6, 0x3d10
	s_addc_u32 s4, s4, s17
	s_mul_hi_u32 s1, s6, 0x3d10
	s_add_u32 s0, s0, s2
	s_addc_u32 s1, s4, s1
	s_add_u32 s16, s0, s36
	s_addc_u32 s17, s1, s37
	s_lshl_b32 s0, s8, 1
	s_and_b32 s0, s0, 0x7fffffe
	s_lshl_b64 s[36:37], s[6:7], 10
	s_lshr_b64 s[38:39], s[16:17], 26
	s_mul_hi_u32 s1, s0, s9
	s_mul_i32 s0, s0, s9
	s_add_u32 s8, s30, s0
	s_mul_hi_u32 s46, s9, s9
	s_mul_i32 s47, s9, s9
	s_addc_u32 s9, s31, s1
	s_and_b32 s6, s8, 0x3ffffff
	s_lshr_b64 s[8:9], s[8:9], 26
	s_add_u32 s2, s45, s76
	s_addc_u32 s4, s44, s75
	s_add_u32 s2, s2, s62
	s_addc_u32 s4, s4, s21
	;; [unrolled: 2-line block ×3, first 2 shown]
	s_add_u32 s2, s2, s36
	s_mul_i32 s1, s6, 0x3d10
	s_addc_u32 s4, s4, s37
	s_mul_hi_u32 s0, s6, 0x3d10
	s_add_u32 s1, s2, s1
	s_addc_u32 s0, s4, s0
	s_add_u32 s26, s1, s38
	s_addc_u32 s27, s0, s39
	s_lshl_b64 s[30:31], s[6:7], 10
	s_lshr_b64 s[36:37], s[26:27], 26
	s_add_u32 s8, s8, s47
	s_addc_u32 s9, s9, s46
	s_mul_hi_u32 s77, s3, s3
	s_mul_i32 s3, s3, s3
	s_and_b32 s6, s8, 0x3ffffff
	s_lshr_b64 s[38:39], s[8:9], 26
	s_add_u32 s2, s61, s3
	s_addc_u32 s5, s57, s77
	s_add_u32 s2, s2, s41
	s_addc_u32 s5, s5, s40
	s_add_u32 s2, s2, s55
	s_addc_u32 s5, s5, s53
	s_add_u32 s2, s2, s52
	s_addc_u32 s5, s5, s25
	s_add_u32 s2, s2, s30
	s_mul_i32 s1, s6, 0x3d10
	s_addc_u32 s5, s5, s31
	s_mul_hi_u32 s0, s6, 0x3d10
	s_add_u32 s1, s2, s1
	s_addc_u32 s0, s5, s0
	s_add_u32 s8, s1, s36
	s_addc_u32 s9, s0, s37
	s_mul_i32 s4, s38, 0x3d10
	s_lshl_b64 s[24:25], s[6:7], 10
	s_lshr_b64 s[30:31], s[8:9], 26
	s_mul_hi_u32 s3, s38, 0x3d10
	s_add_u32 s0, s4, s28
	s_addc_u32 s1, s3, 0
	s_add_u32 s0, s0, s24
	s_addc_u32 s1, s1, s25
	s_add_u32 s30, s0, s30
	s_addc_u32 s31, s1, s31
	s_lshl_b64 s[24:25], s[38:39], 14
	s_lshr_b64 s[28:29], s[30:31], 22
	s_add_u32 s24, s28, s24
	s_addc_u32 s25, s29, s25
	s_mul_hi_u32 s0, s24, 0x3d1
	s_mul_i32 s2, s25, 0x3d1
	s_mul_i32 s1, s24, 0x3d1
	s_add_i32 s0, s0, s2
	s_add_u32 s28, s1, s54
	s_addc_u32 s29, s0, 0
	s_lshl_b64 s[24:25], s[24:25], 6
	s_lshr_b64 s[36:37], s[28:29], 26
	s_add_u32 s0, s24, s19
	s_addc_u32 s1, s25, 0
	s_add_u32 s24, s0, s36
	s_addc_u32 s25, s1, s37
	s_lshr_b64 s[36:37], s[24:25], 26
	s_add_u32 s25, s36, s48
	s_addc_u32 s27, s37, 0
	s_add_i32 s34, s34, -1
	s_cmp_lg_u32 s34, 0
	s_cbranch_scc1 .LBB0_17
; %bb.18:
	v_readlane_b32 s50, v15, 54
	s_and_b32 s26, s26, 0x3ffffff
	v_readlane_b32 s51, v15, 55
	s_mul_i32 s4, s27, s93
	s_mul_hi_u32 s5, s25, s93
	s_and_b32 s31, s10, 0x3ffffff
	s_and_b32 s34, s12, 0x3ffffff
	;; [unrolled: 1-line block ×3, first 2 shown]
	s_mul_i32 s15, s26, s51
	s_mul_hi_u32 s16, s26, s50
	s_and_b32 s28, s28, 0x3ffffff
	s_and_b32 s29, s24, 0x3ffffff
	s_add_i32 s5, s5, s4
	s_mul_i32 s7, s31, s94
	s_mul_i32 s10, s34, s95
	s_and_b32 s36, s14, 0x3ffffff
	s_add_i32 s16, s16, s15
	s_and_b32 s37, s8, 0x3ffffff
	s_and_b32 s30, s30, 0x3fffff
	s_mul_hi_u32 s6, s31, s94
	s_mul_hi_u32 s9, s34, s95
	s_add_u32 s7, s10, s7
	s_mul_i32 s12, s36, vcc_lo
	s_addc_u32 s6, s9, s6
	s_mul_hi_u32 s11, s36, vcc_lo
	s_add_u32 s7, s7, s12
	s_mul_i32 s14, s35, vcc_hi
	s_addc_u32 s6, s6, s11
	s_mul_hi_u32 s13, s35, vcc_hi
	s_add_u32 s7, s7, s14
	s_mul_i32 s15, s26, s50
	s_addc_u32 s6, s6, s13
	s_add_u32 s7, s7, s15
	s_mul_i32 s17, s37, s64
	s_addc_u32 s6, s6, s16
	s_mul_hi_u32 s8, s37, s64
	s_add_u32 s7, s7, s17
	s_mul_i32 s20, s30, s18
	s_addc_u32 s6, s6, s8
	v_readlane_b32 s49, v15, 50
	s_mul_hi_u32 s19, s30, s18
	s_add_u32 s7, s7, s20
	s_mul_i32 s1, s28, s49
	s_addc_u32 s6, s6, s19
	s_mul_hi_u32 s0, s28, s49
	s_add_u32 s1, s7, s1
	s_mul_i32 s3, s29, s92
	s_addc_u32 s0, s6, s0
	;; [unrolled: 4-line block ×3, first 2 shown]
	s_add_u32 s8, s1, s4
	s_addc_u32 s9, s0, s5
	s_mul_i32 s4, s27, s92
	s_mul_hi_u32 s5, s25, s92
	s_mul_i32 s20, s37, s51
	s_mul_hi_u32 s21, s37, s50
	s_and_b32 s24, s8, 0x3ffffff
	s_lshr_b64 s[8:9], s[8:9], 26
	s_add_i32 s5, s5, s4
	s_mul_i32 s10, s31, s93
	s_mul_i32 s12, s34, s94
	s_add_i32 s21, s21, s20
	s_mul_hi_u32 s6, s31, s93
	s_mul_hi_u32 s11, s34, s94
	s_add_u32 s10, s12, s10
	s_mul_i32 s14, s36, s95
	s_addc_u32 s6, s11, s6
	s_mul_hi_u32 s13, s36, s95
	s_add_u32 s10, s10, s14
	s_mul_i32 s16, s35, vcc_lo
	s_addc_u32 s6, s6, s13
	s_mul_hi_u32 s15, s35, vcc_lo
	s_add_u32 s10, s10, s16
	s_mul_i32 s19, s26, vcc_hi
	s_addc_u32 s6, s6, s15
	s_mul_hi_u32 s17, s26, vcc_hi
	s_add_u32 s10, s10, s19
	s_mul_i32 s20, s37, s50
	s_addc_u32 s6, s6, s17
	s_add_u32 s10, s10, s20
	s_mul_i32 s23, s30, s64
	s_addc_u32 s6, s6, s21
	s_mul_hi_u32 s22, s30, s64
	s_add_u32 s10, s10, s23
	s_mul_i32 s3, s29, s49
	s_addc_u32 s6, s6, s22
	s_mul_hi_u32 s2, s29, s49
	s_add_u32 s3, s10, s3
	s_mul_i32 s4, s25, s92
	s_addc_u32 s2, s6, s2
	s_add_u32 s3, s3, s4
	s_addc_u32 s2, s2, s5
	s_add_u32 s8, s3, s8
	s_addc_u32 s9, s2, s9
	s_and_b32 s6, s8, 0x3ffffff
	s_mul_i32 s1, s28, s18
	s_lshr_b64 s[8:9], s[8:9], 26
	s_mul_i32 s3, s6, 0x3d10
	s_mul_hi_u32 s0, s28, s18
	s_mul_hi_u32 s2, s6, 0x3d10
	s_add_u32 s10, s3, s1
	s_mov_b32 s7, 0
	s_addc_u32 s11, s2, s0
	s_mul_i32 s4, s27, s49
	s_mul_hi_u32 s5, s25, s49
	s_mul_i32 s41, s30, s51
	s_mul_hi_u32 s42, s30, s50
	s_and_b32 s38, s10, 0x3ffffff
	s_lshr_b64 s[10:11], s[10:11], 26
	s_lshl_b64 s[12:13], s[6:7], 10
	s_add_i32 s5, s5, s4
	s_mul_i32 s14, s31, s92
	s_mul_i32 s16, s34, s93
	s_add_i32 s42, s42, s41
	s_mul_hi_u32 s6, s31, s92
	s_mul_hi_u32 s15, s34, s93
	s_add_u32 s14, s16, s14
	s_mul_i32 s19, s36, s94
	s_addc_u32 s6, s15, s6
	s_mul_hi_u32 s17, s36, s94
	s_add_u32 s14, s14, s19
	s_mul_i32 s21, s35, s95
	s_addc_u32 s6, s6, s17
	s_mul_hi_u32 s20, s35, s95
	s_add_u32 s14, s14, s21
	s_mul_i32 s23, s26, vcc_lo
	s_addc_u32 s6, s6, s20
	s_mul_hi_u32 s22, s26, vcc_lo
	s_add_u32 s14, s14, s23
	s_mul_i32 s40, s37, vcc_hi
	s_addc_u32 s6, s6, s22
	s_mul_hi_u32 s39, s37, vcc_hi
	s_add_u32 s14, s14, s40
	s_mul_i32 s41, s30, s50
	s_addc_u32 s6, s6, s39
	s_add_u32 s14, s14, s41
	s_mul_i32 s4, s25, s49
	s_addc_u32 s6, s6, s42
	s_add_u32 s4, s14, s4
	s_addc_u32 s5, s6, s5
	s_add_u32 s8, s4, s8
	s_addc_u32 s9, s5, s9
	s_mul_i32 s1, s28, s64
	s_mul_i32 s3, s29, s18
	s_and_b32 s6, s8, 0x3ffffff
	s_lshr_b64 s[8:9], s[8:9], 26
	s_mul_hi_u32 s0, s28, s64
	s_mul_hi_u32 s2, s29, s18
	s_add_u32 s1, s3, s1
	s_addc_u32 s0, s2, s0
	s_add_u32 s1, s1, s12
	s_addc_u32 s0, s0, s13
	s_add_u32 s1, s1, s10
	s_mul_i32 s5, s6, 0x3d10
	s_addc_u32 s0, s0, s11
	s_mul_hi_u32 s4, s6, 0x3d10
	s_add_u32 s10, s1, s5
	s_addc_u32 s11, s0, s4
	s_mul_i32 s0, s28, s51
	s_mul_hi_u32 s1, s28, s50
	s_mul_i32 s4, s27, s18
	s_mul_hi_u32 s5, s25, s18
	s_and_b32 s39, s10, 0x3ffffff
	s_lshr_b64 s[10:11], s[10:11], 26
	s_lshl_b64 s[12:13], s[6:7], 10
	s_add_i32 s1, s1, s0
	s_add_i32 s5, s5, s4
	s_mul_i32 s14, s31, s49
	s_mul_i32 s16, s34, s92
	s_mul_hi_u32 s6, s31, s49
	s_mul_hi_u32 s15, s34, s92
	s_add_u32 s14, s16, s14
	s_mul_i32 s19, s36, s93
	s_addc_u32 s6, s15, s6
	s_mul_hi_u32 s17, s36, s93
	s_add_u32 s14, s14, s19
	s_mul_i32 s21, s35, s94
	s_addc_u32 s6, s6, s17
	;; [unrolled: 4-line block ×3, first 2 shown]
	s_mul_hi_u32 s22, s26, s95
	s_add_u32 s14, s14, s23
	s_mul_i32 s41, s37, vcc_lo
	s_addc_u32 s6, s6, s22
	s_mul_hi_u32 s40, s37, vcc_lo
	s_add_u32 s14, s14, s41
	s_mul_i32 s43, s30, vcc_hi
	s_addc_u32 s6, s6, s40
	s_mul_hi_u32 s42, s30, vcc_hi
	s_add_u32 s14, s14, s43
	s_addc_u32 s6, s6, s42
	s_add_u32 s8, s14, s8
	s_addc_u32 s9, s6, s9
	s_mul_i32 s0, s28, s50
	s_mul_i32 s3, s29, s64
	s_and_b32 s6, s8, 0x3ffffff
	s_lshr_b64 s[8:9], s[8:9], 26
	s_mul_hi_u32 s2, s29, s64
	s_add_u32 s0, s3, s0
	s_mul_i32 s4, s25, s18
	s_addc_u32 s1, s2, s1
	s_add_u32 s0, s0, s4
	s_addc_u32 s1, s1, s5
	s_add_u32 s0, s0, s12
	s_mul_i32 s15, s6, 0x3d10
	s_addc_u32 s1, s1, s13
	s_mul_hi_u32 s14, s6, 0x3d10
	s_add_u32 s0, s0, s15
	s_addc_u32 s1, s1, s14
	s_add_u32 s10, s0, s10
	s_addc_u32 s11, s1, s11
	s_mul_i32 s2, s29, s51
	s_mul_hi_u32 s3, s29, s50
	s_mul_i32 s4, s27, s64
	s_mul_hi_u32 s5, s25, s64
	s_and_b32 s40, s10, 0x3ffffff
	s_lshr_b64 s[10:11], s[10:11], 26
	s_lshl_b64 s[12:13], s[6:7], 10
	s_add_i32 s3, s3, s2
	s_add_i32 s5, s5, s4
	s_mul_i32 s14, s34, s49
	s_mul_i32 s19, s36, s92
	s_mul_hi_u32 s6, s34, s49
	s_mul_hi_u32 s15, s36, s92
	s_add_u32 s14, s19, s14
	s_mul_i32 s21, s35, s93
	s_addc_u32 s6, s15, s6
	s_mul_hi_u32 s20, s35, s93
	s_add_u32 s14, s14, s21
	s_mul_i32 s23, s26, s94
	s_addc_u32 s6, s6, s20
	;; [unrolled: 4-line block ×3, first 2 shown]
	s_mul_hi_u32 s41, s37, s95
	s_add_u32 s14, s14, s42
	s_mul_i32 s44, s30, vcc_lo
	s_addc_u32 s6, s6, s41
	s_mul_hi_u32 s43, s30, vcc_lo
	s_add_u32 s14, s14, s44
	s_addc_u32 s6, s6, s43
	s_add_u32 s8, s14, s8
	s_addc_u32 s9, s6, s9
	s_mul_i32 s1, s28, vcc_hi
	s_mul_i32 s17, s31, s18
	s_and_b32 s6, s8, 0x3ffffff
	s_lshr_b64 s[14:15], s[8:9], 26
	s_mul_hi_u32 s0, s28, vcc_hi
	s_mul_hi_u32 s16, s31, s18
	s_add_u32 s1, s1, s17
	s_mul_i32 s2, s29, s50
	s_addc_u32 s0, s0, s16
	s_add_u32 s1, s1, s2
	s_mul_i32 s4, s25, s64
	s_addc_u32 s0, s0, s3
	s_add_u32 s1, s1, s4
	s_addc_u32 s0, s0, s5
	s_add_u32 s1, s1, s12
	s_mul_i32 s9, s6, 0x3d10
	s_addc_u32 s0, s0, s13
	s_mul_hi_u32 s8, s6, 0x3d10
	s_add_u32 s1, s1, s9
	s_addc_u32 s0, s0, s8
	s_add_u32 s8, s1, s10
	s_mul_i32 s4, s25, s51
	s_mul_hi_u32 s5, s25, s50
	s_addc_u32 s9, s0, s11
	s_add_i32 s4, s5, s4
	s_mul_i32 s5, s27, s50
	s_lshr_b64 s[10:11], s[8:9], 26
	s_lshl_b64 s[12:13], s[6:7], 10
	s_add_i32 s4, s4, s5
	s_mul_i32 s20, s36, s49
	s_mul_i32 s22, s35, s92
	s_mul_hi_u32 s6, s36, s49
	s_mul_hi_u32 s21, s35, s92
	s_add_u32 s20, s22, s20
	s_mul_i32 s41, s26, s93
	s_addc_u32 s6, s21, s6
	s_mul_hi_u32 s23, s26, s93
	s_add_u32 s20, s20, s41
	s_mul_i32 s43, s37, s94
	s_addc_u32 s6, s6, s23
	;; [unrolled: 4-line block ×3, first 2 shown]
	s_mul_hi_u32 s44, s30, s95
	s_add_u32 s20, s20, s45
	s_addc_u32 s6, s6, s44
	s_add_u32 s14, s20, s14
	s_addc_u32 s15, s6, s15
	s_mul_i32 s16, s31, s64
	s_mul_i32 s19, s34, s18
	s_and_b32 s6, s14, 0x3ffffff
	s_lshr_b64 s[14:15], s[14:15], 26
	s_mul_hi_u32 s9, s31, s64
	s_mul_hi_u32 s17, s34, s18
	s_add_u32 s16, s19, s16
	s_mul_i32 s1, s28, vcc_lo
	s_addc_u32 s9, s17, s9
	s_mul_hi_u32 s0, s28, vcc_lo
	s_add_u32 s1, s16, s1
	s_mul_i32 s3, s29, vcc_hi
	s_addc_u32 s0, s9, s0
	s_mul_hi_u32 s2, s29, vcc_hi
	s_add_u32 s1, s1, s3
	s_mul_i32 s5, s25, s50
	s_addc_u32 s0, s0, s2
	s_add_u32 s1, s1, s5
	s_addc_u32 s0, s0, s4
	s_add_u32 s1, s1, s12
	s_mul_i32 s21, s6, 0x3d10
	s_addc_u32 s0, s0, s13
	s_mul_hi_u32 s20, s6, 0x3d10
	s_add_u32 s1, s1, s21
	s_addc_u32 s0, s0, s20
	s_add_u32 s10, s1, s10
	s_addc_u32 s11, s0, s11
	s_lshl_b64 s[16:17], s[6:7], 10
	s_mul_i32 s4, s27, vcc_hi
	s_mul_hi_u32 s5, s25, vcc_hi
	s_mul_i32 s6, s31, s51
	s_mul_hi_u32 s9, s31, s50
	s_lshr_b64 s[12:13], s[10:11], 26
	s_add_i32 s5, s5, s4
	s_add_i32 s9, s9, s6
	s_mul_i32 s23, s35, s49
	s_mul_i32 s42, s26, s92
	s_mul_hi_u32 s6, s35, s49
	s_mul_hi_u32 s41, s26, s92
	s_add_u32 s23, s42, s23
	s_mul_i32 s44, s37, s93
	s_addc_u32 s6, s41, s6
	s_mul_hi_u32 s43, s37, s93
	s_add_u32 s23, s23, s44
	s_mul_i32 s46, s30, s94
	s_addc_u32 s6, s6, s43
	s_mul_hi_u32 s45, s30, s94
	s_add_u32 s23, s23, s46
	s_addc_u32 s6, s6, s45
	s_add_u32 s14, s23, s14
	s_addc_u32 s15, s6, s15
	s_mul_i32 s11, s31, s50
	s_mul_i32 s20, s34, s64
	s_and_b32 s6, s14, 0x3ffffff
	s_lshr_b64 s[14:15], s[14:15], 26
	s_mul_hi_u32 s19, s34, s64
	s_add_u32 s11, s20, s11
	s_mul_i32 s22, s36, s18
	s_addc_u32 s9, s19, s9
	s_mul_hi_u32 s21, s36, s18
	s_add_u32 s11, s11, s22
	s_mul_i32 s1, s28, s95
	s_addc_u32 s9, s9, s21
	s_mul_hi_u32 s0, s28, s95
	s_add_u32 s1, s11, s1
	s_mul_i32 s3, s29, vcc_lo
	s_addc_u32 s0, s9, s0
	s_mul_hi_u32 s2, s29, vcc_lo
	s_add_u32 s1, s1, s3
	s_mul_i32 s4, s25, vcc_hi
	s_addc_u32 s0, s0, s2
	s_add_u32 s1, s1, s4
	s_addc_u32 s0, s0, s5
	s_add_u32 s1, s1, s16
	s_mul_i32 s41, s6, 0x3d10
	s_addc_u32 s0, s0, s17
	s_mul_hi_u32 s23, s6, 0x3d10
	s_add_u32 s1, s1, s41
	s_addc_u32 s0, s0, s23
	s_add_u32 s12, s1, s12
	s_addc_u32 s13, s0, s13
	s_lshr_b64 s[16:17], s[12:13], 26
	s_lshl_b64 s[42:43], s[6:7], 10
	s_mul_i32 s4, s27, vcc_lo
	s_mul_hi_u32 s5, s25, vcc_lo
	s_mul_i32 s6, s34, s51
	s_mul_hi_u32 s13, s34, s50
	s_add_i32 s5, s5, s4
	s_add_i32 s13, s13, s6
	s_mul_i32 s41, s26, s49
	s_mul_i32 s45, s37, s92
	s_mul_hi_u32 s6, s26, s49
	s_mul_hi_u32 s44, s37, s92
	s_add_u32 s41, s45, s41
	s_mul_i32 s47, s30, s93
	s_addc_u32 s6, s44, s6
	s_mul_hi_u32 s46, s30, s93
	s_add_u32 s41, s41, s47
	s_addc_u32 s6, s6, s46
	s_add_u32 s14, s41, s14
	s_addc_u32 s15, s6, s15
	s_mul_i32 s11, s31, vcc_hi
	s_mul_i32 s19, s34, s50
	s_and_b32 s6, s14, 0x3ffffff
	s_lshr_b64 s[44:45], s[14:15], 26
	s_mul_hi_u32 s9, s31, vcc_hi
	s_add_u32 s11, s19, s11
	s_mul_i32 s21, s36, s64
	s_addc_u32 s9, s13, s9
	s_mul_hi_u32 s20, s36, s64
	s_add_u32 s11, s11, s21
	s_mul_i32 s23, s35, s18
	s_addc_u32 s9, s9, s20
	s_mul_hi_u32 s22, s35, s18
	;; [unrolled: 4-line block ×4, first 2 shown]
	s_add_u32 s1, s1, s3
	s_mul_i32 s4, s25, vcc_lo
	s_addc_u32 s0, s0, s2
	s_add_u32 s1, s1, s4
	s_addc_u32 s0, s0, s5
	s_add_u32 s1, s1, s42
	s_mul_i32 s15, s6, 0x3d10
	s_addc_u32 s0, s0, s43
	s_mul_hi_u32 s14, s6, 0x3d10
	s_add_u32 s1, s1, s15
	s_addc_u32 s0, s0, s14
	s_add_u32 s14, s1, s16
	s_addc_u32 s15, s0, s17
	s_lshl_b64 s[42:43], s[6:7], 10
	s_mul_i32 s4, s27, s95
	s_mul_hi_u32 s5, s25, s95
	s_mul_i32 s6, s36, s51
	s_mul_hi_u32 s19, s36, s50
	s_lshr_b64 s[16:17], s[14:15], 26
	s_add_i32 s5, s5, s4
	s_add_i32 s19, s19, s6
	s_mul_i32 s46, s37, s49
	s_mul_i32 s48, s30, s92
	s_mul_hi_u32 s6, s37, s49
	s_mul_hi_u32 s47, s30, s92
	s_add_u32 s46, s48, s46
	s_addc_u32 s6, s47, s6
	s_add_u32 s44, s46, s44
	s_addc_u32 s45, s6, s45
	s_mul_i32 s11, s31, vcc_lo
	s_mul_i32 s15, s34, vcc_hi
	s_and_b32 s6, s44, 0x3ffffff
	s_lshr_b64 s[44:45], s[44:45], 26
	s_mul_hi_u32 s9, s31, vcc_lo
	s_mul_hi_u32 s13, s34, vcc_hi
	s_add_u32 s11, s15, s11
	s_mul_i32 s20, s36, s50
	s_addc_u32 s9, s13, s9
	s_add_u32 s11, s11, s20
	s_mul_i32 s22, s35, s64
	s_addc_u32 s9, s9, s19
	s_mul_hi_u32 s21, s35, s64
	s_add_u32 s11, s11, s22
	s_mul_i32 s41, s26, s18
	s_addc_u32 s9, s9, s21
	s_mul_hi_u32 s23, s26, s18
	s_add_u32 s11, s11, s41
	s_mul_i32 s1, s28, s93
	s_addc_u32 s9, s9, s23
	s_mul_hi_u32 s0, s28, s93
	s_add_u32 s1, s11, s1
	s_mul_i32 s3, s29, s94
	s_addc_u32 s0, s9, s0
	s_mul_hi_u32 s2, s29, s94
	s_add_u32 s1, s1, s3
	s_mul_i32 s4, s25, s95
	s_addc_u32 s0, s0, s2
	s_add_u32 s1, s1, s4
	s_addc_u32 s0, s0, s5
	s_add_u32 s1, s1, s42
	s_mul_i32 s47, s6, 0x3d10
	s_addc_u32 s0, s0, s43
	s_mul_hi_u32 s46, s6, 0x3d10
	s_add_u32 s1, s1, s47
	s_addc_u32 s0, s0, s46
	s_add_u32 s16, s1, s16
	s_addc_u32 s17, s0, s17
	s_mul_i32 s2, s27, s94
	s_mul_hi_u32 s3, s25, s94
	s_mul_i32 s4, s35, s51
	s_mul_hi_u32 s5, s35, s50
	s_lshr_b64 s[42:43], s[16:17], 26
	s_lshl_b64 s[46:47], s[6:7], 10
	s_add_i32 s3, s3, s2
	s_add_i32 s15, s5, s4
	s_mul_hi_u32 s5, s30, s49
	s_mul_i32 s30, s30, s49
	s_add_u32 s4, s44, s30
	s_addc_u32 s5, s45, s5
	s_mul_hi_u32 s9, s31, s95
	s_mul_i32 s31, s31, s95
	s_mul_hi_u32 s11, s34, vcc_lo
	s_mul_i32 s34, s34, vcc_lo
	s_mul_hi_u32 s20, s37, s18
	s_mul_i32 s37, s37, s18
	s_and_b32 s6, s4, 0x3ffffff
	s_lshr_b64 s[18:19], s[4:5], 26
	s_add_u32 s21, s34, s31
	s_mul_hi_u32 s13, s36, vcc_hi
	s_mul_i32 s36, s36, vcc_hi
	s_addc_u32 s9, s11, s9
	s_add_u32 s11, s21, s36
	s_mul_i32 s35, s35, s50
	s_addc_u32 s9, s9, s13
	s_add_u32 s11, s11, s35
	s_mul_hi_u32 s17, s26, s64
	s_mul_i32 s26, s26, s64
	s_addc_u32 s9, s9, s15
	s_add_u32 s11, s11, s26
	s_addc_u32 s9, s9, s17
	s_add_u32 s11, s11, s37
	s_mul_hi_u32 s0, s28, s92
	s_mul_i32 s28, s28, s92
	s_addc_u32 s9, s9, s20
	s_add_u32 s11, s11, s28
	s_mul_hi_u32 s1, s29, s93
	s_mul_i32 s29, s29, s93
	s_addc_u32 s0, s9, s0
	s_add_u32 s9, s11, s29
	s_mul_i32 s2, s25, s94
	s_addc_u32 s0, s0, s1
	s_add_u32 s1, s9, s2
	s_addc_u32 s0, s0, s3
	s_add_u32 s1, s1, s46
	s_mul_i32 s5, s6, 0x3d10
	s_addc_u32 s0, s0, s47
	s_mul_hi_u32 s4, s6, 0x3d10
	s_add_u32 s1, s1, s5
	s_addc_u32 s0, s0, s4
	s_add_u32 s4, s1, s42
	s_addc_u32 s5, s0, s43
	s_lshr_b64 s[26:27], s[4:5], 26
	s_lshl_b64 s[28:29], s[6:7], 10
	s_mul_i32 s1, s18, 0x3d10
	s_mul_hi_u32 s0, s18, 0x3d10
	s_add_u32 s1, s1, s24
	s_addc_u32 s0, s0, 0
	s_add_u32 s1, s1, s28
	s_addc_u32 s0, s0, s29
	;; [unrolled: 2-line block ×3, first 2 shown]
	s_lshr_b64 s[24:25], s[28:29], 22
	s_lshl_b64 s[18:19], s[18:19], 14
	s_add_u32 s18, s24, s18
	s_addc_u32 s19, s25, s19
	s_mul_i32 s0, s19, 0x3d1
	s_mul_hi_u32 s1, s18, 0x3d1
	s_add_i32 s1, s1, s0
	s_mul_i32 s0, s18, 0x3d1
	s_add_u32 s26, s0, s38
	s_addc_u32 s27, s1, 0
	s_lshr_b64 s[24:25], s[26:27], 26
	s_lshl_b64 s[18:19], s[18:19], 6
	s_add_u32 s0, s18, s39
	s_addc_u32 s1, s19, 0
	s_add_u32 s24, s0, s24
	s_addc_u32 s25, s1, s25
	s_lshr_b64 s[18:19], s[24:25], 26
	s_add_u32 s17, s18, s40
	s_addc_u32 s18, s19, 0
	s_mov_b32 s30, 3
.LBB0_19:                               ; =>This Inner Loop Header: Depth=1
	s_and_b32 s5, s28, 0x3fffff
	s_lshl_b32 s21, s24, 1
	s_lshl_b32 s28, s8, 1
	;; [unrolled: 1-line block ×4, first 2 shown]
	s_and_b32 s15, s14, 0x3ffffff
	s_and_b32 s6, s12, 0x3ffffff
	;; [unrolled: 1-line block ×6, first 2 shown]
	s_lshl_b32 s11, s17, 1
	s_and_b32 s9, s16, 0x3ffffff
	s_and_b32 s34, s19, 0x7fffffe
	s_mul_i32 s22, s15, s28
	s_mul_i32 s49, s21, s6
	s_mul_hi_u32 s20, s15, s28
	s_mul_hi_u32 s23, s21, s6
	s_add_u32 s22, s22, s49
	s_mul_i32 s50, s9, s11
	s_addc_u32 s20, s20, s23
	s_mul_hi_u32 s52, s9, s11
	s_add_u32 s22, s22, s50
	s_mul_i32 s3, s13, s29
	s_addc_u32 s20, s20, s52
	;; [unrolled: 4-line block ×3, first 2 shown]
	s_mul_hi_u32 s0, s5, s34
	s_add_u32 s66, s3, s1
	s_addc_u32 s67, s2, s0
	s_mul_i32 s19, s6, s6
	s_mul_i32 s72, s15, s21
	s_and_b32 s0, s26, 0x3ffffff
	s_and_b32 s26, s66, 0x3fffffe
	s_lshr_b64 s[66:67], s[66:67], 26
	s_mul_hi_u32 s56, s6, s6
	s_mul_hi_u32 s71, s15, s21
	s_add_u32 s2, s72, s19
	s_mul_i32 s70, s9, s28
	s_addc_u32 s3, s71, s56
	s_mul_hi_u32 s69, s9, s28
	s_add_u32 s2, s2, s70
	s_mul_i32 s54, s13, s11
	s_addc_u32 s3, s3, s69
	s_mul_hi_u32 s51, s13, s11
	s_add_u32 s2, s2, s54
	s_mul_i32 s68, s5, s29
	s_addc_u32 s3, s3, s51
	s_mul_hi_u32 s65, s5, s29
	s_add_u32 s2, s2, s68
	s_addc_u32 s3, s3, s65
	s_add_u32 s66, s2, s66
	s_mul_hi_u32 s41, s6, s11
	s_mul_i32 s42, s6, s11
	s_mul_hi_u32 s63, s6, s34
	s_mul_i32 s64, s6, s34
	;; [unrolled: 2-line block ×4, first 2 shown]
	s_addc_u32 s67, s3, s67
	s_and_b32 s6, s66, 0x3ffffff
	s_mul_hi_u32 s1, s0, s0
	s_mul_i32 s0, s0, s0
	s_lshr_b64 s[66:67], s[66:67], 26
	s_mul_i32 s3, s6, 0x3d10
	s_mul_hi_u32 s2, s6, 0x3d10
	s_add_u32 s68, s3, s0
	s_addc_u32 s69, s2, s1
	s_lshl_b32 s1, s12, 1
	s_and_b32 s1, s1, 0x7fffffe
	s_mul_hi_u32 s45, s15, s15
	s_mul_i32 s46, s15, s15
	s_mul_hi_u32 s37, s15, s11
	s_mul_i32 s38, s15, s11
	;; [unrolled: 2-line block ×7, first 2 shown]
	s_and_b32 s51, s68, 0x3fffffd
	s_lshl_b64 s[70:71], s[6:7], 10
	s_and_b32 s0, s24, 0x3ffffff
	s_lshr_b64 s[68:69], s[68:69], 26
	s_mul_hi_u32 s6, s1, s15
	s_mul_i32 s15, s1, s15
	s_add_u32 s15, s76, s15
	s_mul_i32 s74, s13, s28
	s_addc_u32 s6, s75, s6
	s_mul_hi_u32 s73, s13, s28
	s_add_u32 s15, s15, s74
	s_mul_i32 s48, s5, s11
	s_addc_u32 s6, s6, s73
	s_mul_hi_u32 s47, s5, s11
	s_add_u32 s15, s15, s48
	s_addc_u32 s6, s6, s47
	s_add_u32 s66, s15, s66
	s_addc_u32 s67, s6, s67
	s_mul_i32 s3, s34, s0
	s_and_b32 s6, s66, 0x3ffffff
	s_lshr_b64 s[66:67], s[66:67], 26
	s_mul_hi_u32 s2, s34, s0
	s_add_u32 s3, s70, s3
	s_addc_u32 s2, s71, s2
	s_add_u32 s3, s3, s68
	s_mul_i32 s19, s6, 0x3d10
	s_addc_u32 s2, s2, s69
	s_mul_hi_u32 s15, s6, 0x3d10
	s_add_u32 s68, s3, s19
	s_mul_i32 s77, s34, s18
	s_mul_hi_u32 s78, s34, s17
	s_addc_u32 s69, s2, s15
	s_mul_i32 s22, s9, s1
	s_and_b32 s19, s68, 0x3ffffff
	s_lshl_b64 s[70:71], s[6:7], 10
	s_add_i32 s78, s78, s77
	s_lshr_b64 s[68:69], s[68:69], 26
	s_mul_hi_u32 s20, s9, s1
	s_add_u32 s2, s22, s46
	s_addc_u32 s3, s20, s45
	s_add_u32 s2, s2, s83
	s_mul_i32 s81, s5, s28
	s_addc_u32 s3, s3, s82
	s_mul_hi_u32 s80, s5, s28
	s_add_u32 s2, s2, s81
	s_addc_u32 s3, s3, s80
	s_add_u32 s46, s2, s66
	s_addc_u32 s47, s3, s67
	s_mul_i32 s79, s34, s17
	s_mul_hi_u32 s12, s0, s0
	s_mul_i32 s0, s0, s0
	s_and_b32 s6, s46, 0x3ffffff
	s_lshr_b64 s[46:47], s[46:47], 26
	s_add_u32 s0, s79, s0
	s_addc_u32 s12, s78, s12
	s_add_u32 s0, s0, s70
	s_mul_i32 s3, s6, 0x3d10
	s_addc_u32 s12, s12, s71
	s_mul_hi_u32 s2, s6, 0x3d10
	s_add_u32 s0, s0, s3
	s_addc_u32 s2, s12, s2
	s_add_u32 s66, s0, s68
	s_addc_u32 s67, s2, s69
	s_lshl_b32 s2, s14, 1
	s_mul_i32 s84, s29, s18
	s_mul_hi_u32 s85, s29, s17
	s_and_b32 s2, s2, 0x7fffffe
	s_mul_i32 s24, s13, s1
	s_and_b32 s45, s66, 0x3ffffff
	s_lshl_b64 s[68:69], s[6:7], 10
	s_and_b32 s0, s8, 0x3ffffff
	s_add_i32 s85, s85, s84
	s_lshr_b64 s[14:15], s[66:67], 26
	s_mul_i32 s8, s2, s9
	s_mul_hi_u32 s23, s13, s1
	s_mul_hi_u32 s6, s2, s9
	s_add_u32 s8, s24, s8
	s_addc_u32 s6, s23, s6
	s_add_u32 s8, s8, s88
	s_addc_u32 s6, s6, s87
	s_add_u32 s8, s8, s46
	s_mul_i32 s27, s17, s18
	s_mul_hi_u32 s31, s17, s17
	s_mul_i32 s25, s17, s17
	s_mul_hi_u32 s35, s9, s9
	s_mul_i32 s36, s9, s9
	s_mul_i32 s86, s29, s17
	s_mul_hi_u32 s17, s9, s34
	s_mul_i32 s55, s9, s34
	s_mul_hi_u32 s50, s9, s29
	s_mul_i32 s52, s9, s29
	s_addc_u32 s9, s6, s47
	s_mul_i32 s12, s0, s34
	s_and_b32 s6, s8, 0x3ffffff
	s_lshr_b64 s[46:47], s[8:9], 26
	s_mul_hi_u32 s3, s0, s34
	s_add_u32 s12, s12, s86
	s_addc_u32 s3, s3, s85
	s_add_u32 s12, s12, s68
	s_mul_i32 s9, s6, 0x3d10
	s_addc_u32 s3, s3, s69
	s_mul_hi_u32 s8, s6, 0x3d10
	s_add_u32 s9, s12, s9
	s_addc_u32 s3, s3, s8
	s_add_u32 s8, s9, s14
	s_addc_u32 s9, s3, s15
	s_lshl_b64 s[14:15], s[6:7], 10
	s_add_i32 s6, s31, s27
	s_mul_i32 s71, s13, s2
	s_and_b32 s3, s10, 0x3ffffff
	s_lshr_b64 s[66:67], s[8:9], 26
	s_add_i32 s23, s6, s27
	s_mul_hi_u32 s70, s13, s2
	s_add_u32 s6, s71, s36
	s_mul_hi_u32 s54, s5, s1
	s_mul_i32 s1, s5, s1
	s_addc_u32 s10, s70, s35
	s_add_u32 s1, s6, s1
	s_addc_u32 s6, s10, s54
	s_add_u32 s10, s1, s46
	s_mul_hi_u32 s18, s13, s34
	s_mul_i32 s49, s13, s34
	s_mul_hi_u32 s48, s11, s0
	s_mul_i32 s56, s11, s0
	;; [unrolled: 2-line block ×4, first 2 shown]
	s_addc_u32 s11, s6, s47
	s_mul_hi_u32 s20, s0, s29
	s_mul_i32 s22, s0, s29
	s_mul_hi_u32 s27, s3, s29
	s_mul_i32 s31, s3, s29
	;; [unrolled: 2-line block ×3, first 2 shown]
	s_and_b32 s6, s10, 0x3ffffff
	s_lshr_b64 s[28:29], s[10:11], 26
	s_add_u32 s11, s22, s25
	s_addc_u32 s20, s20, s23
	s_add_u32 s11, s11, s12
	s_addc_u32 s9, s20, s9
	s_add_u32 s11, s11, s14
	s_mul_i32 s10, s6, 0x3d10
	s_addc_u32 s9, s9, s15
	s_mul_hi_u32 s1, s6, 0x3d10
	s_add_u32 s10, s11, s10
	s_addc_u32 s1, s9, s1
	s_add_u32 s10, s10, s66
	s_addc_u32 s11, s1, s67
	s_lshl_b32 s1, s16, 1
	s_and_b32 s1, s1, 0x7fffffe
	s_mul_hi_u32 s72, s5, s2
	s_mul_i32 s2, s5, s2
	s_lshl_b64 s[14:15], s[6:7], 10
	s_lshr_b64 s[24:25], s[10:11], 26
	s_mul_i32 s9, s1, s13
	s_mul_hi_u32 s6, s1, s13
	s_add_u32 s2, s2, s9
	s_addc_u32 s6, s72, s6
	s_add_u32 s12, s2, s28
	s_mul_hi_u32 s39, s13, s13
	s_mul_i32 s40, s13, s13
	s_addc_u32 s13, s6, s29
	s_and_b32 s6, s12, 0x3ffffff
	s_lshr_b64 s[28:29], s[12:13], 26
	s_add_u32 s12, s31, s56
	s_addc_u32 s13, s27, s48
	s_add_u32 s12, s12, s64
	s_addc_u32 s13, s13, s63
	s_add_u32 s12, s12, s14
	s_mul_i32 s9, s6, 0x3d10
	s_addc_u32 s13, s13, s15
	s_mul_hi_u32 s2, s6, 0x3d10
	s_add_u32 s9, s12, s9
	s_addc_u32 s2, s13, s2
	s_add_u32 s12, s9, s24
	s_addc_u32 s13, s2, s25
	s_mul_hi_u32 s11, s5, s1
	s_mul_i32 s1, s5, s1
	s_lshl_b64 s[14:15], s[6:7], 10
	s_lshr_b64 s[24:25], s[12:13], 26
	s_add_u32 s1, s1, s40
	s_addc_u32 s2, s11, s39
	s_add_u32 s28, s1, s28
	s_addc_u32 s29, s2, s29
	s_mul_hi_u32 s65, s0, s0
	s_mul_i32 s0, s0, s0
	s_and_b32 s6, s28, 0x3ffffff
	s_lshr_b64 s[28:29], s[28:29], 26
	s_add_u32 s0, s68, s0
	s_addc_u32 s9, s34, s65
	s_add_u32 s0, s0, s62
	s_addc_u32 s9, s9, s61
	;; [unrolled: 2-line block ×3, first 2 shown]
	s_add_u32 s0, s0, s14
	s_mul_i32 s2, s6, 0x3d10
	s_addc_u32 s9, s9, s15
	s_mul_hi_u32 s1, s6, 0x3d10
	s_add_u32 s0, s0, s2
	s_addc_u32 s1, s9, s1
	s_add_u32 s14, s0, s24
	s_addc_u32 s15, s1, s25
	s_lshl_b32 s0, s4, 1
	s_and_b32 s0, s0, 0x7fffffe
	s_lshl_b64 s[24:25], s[6:7], 10
	s_lshr_b64 s[34:35], s[14:15], 26
	s_mul_hi_u32 s1, s0, s5
	s_mul_i32 s0, s0, s5
	s_add_u32 s4, s28, s0
	s_mul_hi_u32 s43, s5, s5
	s_mul_i32 s44, s5, s5
	s_addc_u32 s5, s29, s1
	s_and_b32 s6, s4, 0x3ffffff
	s_lshr_b64 s[4:5], s[4:5], 26
	s_add_u32 s2, s42, s73
	s_addc_u32 s9, s41, s69
	s_add_u32 s2, s2, s59
	s_addc_u32 s9, s9, s21
	;; [unrolled: 2-line block ×3, first 2 shown]
	s_add_u32 s2, s2, s24
	s_mul_i32 s1, s6, 0x3d10
	s_addc_u32 s9, s9, s25
	s_mul_hi_u32 s0, s6, 0x3d10
	s_add_u32 s1, s2, s1
	s_addc_u32 s0, s9, s0
	s_add_u32 s16, s1, s34
	s_addc_u32 s17, s0, s35
	s_lshl_b64 s[24:25], s[6:7], 10
	s_lshr_b64 s[28:29], s[16:17], 26
	s_add_u32 s4, s4, s44
	s_addc_u32 s5, s5, s43
	s_mul_hi_u32 s74, s3, s3
	s_mul_i32 s3, s3, s3
	s_and_b32 s6, s4, 0x3ffffff
	s_lshr_b64 s[34:35], s[4:5], 26
	s_add_u32 s2, s58, s3
	s_addc_u32 s4, s53, s74
	s_add_u32 s2, s2, s38
	s_addc_u32 s4, s4, s37
	;; [unrolled: 2-line block ×4, first 2 shown]
	s_add_u32 s2, s2, s24
	s_mul_i32 s1, s6, 0x3d10
	s_addc_u32 s4, s4, s25
	s_mul_hi_u32 s0, s6, 0x3d10
	s_add_u32 s1, s2, s1
	s_addc_u32 s0, s4, s0
	s_add_u32 s4, s1, s28
	s_addc_u32 s5, s0, s29
	s_mul_i32 s9, s34, 0x3d10
	s_lshl_b64 s[24:25], s[6:7], 10
	s_lshr_b64 s[28:29], s[4:5], 26
	s_mul_hi_u32 s3, s34, 0x3d10
	s_add_u32 s0, s9, s26
	s_addc_u32 s1, s3, 0
	s_add_u32 s0, s0, s24
	s_addc_u32 s1, s1, s25
	;; [unrolled: 2-line block ×3, first 2 shown]
	s_lshl_b64 s[24:25], s[34:35], 14
	s_lshr_b64 s[26:27], s[28:29], 22
	s_add_u32 s24, s26, s24
	s_addc_u32 s25, s27, s25
	s_mul_hi_u32 s0, s24, 0x3d1
	s_mul_i32 s2, s25, 0x3d1
	s_mul_i32 s1, s24, 0x3d1
	s_add_i32 s0, s0, s2
	s_add_u32 s26, s1, s51
	s_addc_u32 s27, s0, 0
	s_lshl_b64 s[24:25], s[24:25], 6
	s_lshr_b64 s[34:35], s[26:27], 26
	s_add_u32 s0, s24, s19
	s_addc_u32 s1, s25, 0
	s_add_u32 s24, s0, s34
	s_addc_u32 s25, s1, s35
	s_lshr_b64 s[18:19], s[24:25], 26
	s_add_u32 s17, s18, s45
	s_addc_u32 s18, s19, 0
	s_add_i32 s30, s30, -1
	s_cmp_lg_u32 s30, 0
	s_cbranch_scc1 .LBB0_19
; %bb.20:
	v_readlane_b32 s48, v15, 33
	v_readlane_b32 s52, v15, 28
	s_and_b32 s31, s16, 0x3ffffff
	v_readlane_b32 s49, v15, 34
	s_and_b32 s25, s26, 0x3ffffff
	s_mul_i32 s5, s18, s52
	s_mul_hi_u32 s6, s17, s52
	s_and_b32 s26, s8, 0x3ffffff
	v_readlane_b32 s53, v15, 29
	s_and_b32 s27, s10, 0x3ffffff
	v_readlane_b32 s54, v15, 30
	s_mul_i32 s15, s31, s49
	s_mul_hi_u32 s16, s31, s48
	s_and_b32 s24, s24, 0x3ffffff
	s_add_i32 s5, s6, s5
	s_mul_i32 s8, s26, s53
	s_mul_i32 s10, s27, s54
	s_and_b32 s30, s12, 0x3ffffff
	s_and_b32 s29, s14, 0x3ffffff
	s_add_i32 s16, s16, s15
	s_and_b32 s34, s4, 0x3ffffff
	s_and_b32 s28, s28, 0x3fffff
	s_mul_hi_u32 s7, s26, s53
	s_mul_hi_u32 s9, s27, s54
	v_readlane_b32 s55, v15, 31
	s_add_u32 s8, s10, s8
	s_mul_i32 s12, s30, s55
	s_addc_u32 s7, s9, s7
	s_mul_hi_u32 s11, s30, s55
	v_readlane_b32 s56, v15, 32
	s_add_u32 s8, s8, s12
	s_mul_i32 s14, s29, s56
	s_addc_u32 s7, s7, s11
	s_mul_hi_u32 s13, s29, s56
	s_add_u32 s8, s8, s14
	s_mul_i32 s15, s31, s48
	s_addc_u32 s7, s7, s13
	v_readlane_b32 s57, v15, 35
	s_add_u32 s8, s8, s15
	s_mul_i32 s19, s34, s57
	s_addc_u32 s7, s7, s16
	s_mul_hi_u32 s4, s34, s57
	v_readlane_b32 s58, v15, 36
	s_add_u32 s8, s8, s19
	s_mul_i32 s21, s28, s58
	s_addc_u32 s4, s7, s4
	v_readlane_b32 s50, v15, 37
	s_mul_hi_u32 s20, s28, s58
	s_add_u32 s7, s8, s21
	s_mul_i32 s1, s25, s50
	s_addc_u32 s4, s4, s20
	s_mul_hi_u32 s0, s25, s50
	v_readlane_b32 s51, v15, 27
	s_add_u32 s1, s7, s1
	s_mul_i32 s3, s24, s51
	s_addc_u32 s0, s4, s0
	s_mul_hi_u32 s2, s24, s51
	s_add_u32 s1, s1, s3
	s_mul_i32 s6, s17, s52
	s_addc_u32 s0, s0, s2
	s_add_u32 s6, s1, s6
	s_addc_u32 s7, s0, s5
	s_mul_i32 s4, s18, s51
	s_mul_hi_u32 s8, s17, s51
	s_mul_i32 s22, s34, s49
	s_mul_hi_u32 s23, s34, s48
	s_and_b32 s16, s6, 0x3ffffff
	s_lshr_b64 s[6:7], s[6:7], 26
	s_add_i32 s8, s8, s4
	s_mul_i32 s10, s26, s52
	s_mul_i32 s12, s27, s53
	s_add_i32 s23, s23, s22
	s_mul_hi_u32 s9, s26, s52
	s_mul_hi_u32 s11, s27, s53
	s_add_u32 s10, s12, s10
	s_mul_i32 s14, s30, s54
	s_addc_u32 s9, s11, s9
	s_mul_hi_u32 s13, s30, s54
	s_add_u32 s10, s10, s14
	s_mul_i32 s19, s29, s55
	s_addc_u32 s9, s9, s13
	;; [unrolled: 4-line block ×4, first 2 shown]
	s_add_u32 s10, s10, s22
	s_mul_i32 s36, s28, s57
	s_addc_u32 s9, s9, s23
	s_mul_hi_u32 s35, s28, s57
	s_add_u32 s10, s10, s36
	s_mul_i32 s3, s24, s50
	s_addc_u32 s9, s9, s35
	s_mul_hi_u32 s2, s24, s50
	s_add_u32 s3, s10, s3
	s_mul_i32 s4, s17, s51
	s_addc_u32 s2, s9, s2
	s_add_u32 s3, s3, s4
	s_addc_u32 s2, s2, s8
	s_add_u32 s6, s3, s6
	s_addc_u32 s7, s2, s7
	s_and_b32 s4, s6, 0x3ffffff
	s_mul_i32 s1, s25, s58
	s_lshr_b64 s[6:7], s[6:7], 26
	s_mul_i32 s3, s4, 0x3d10
	s_mov_b32 s5, 0
	s_mul_hi_u32 s0, s25, s58
	s_mul_hi_u32 s2, s4, 0x3d10
	s_add_u32 s8, s3, s1
	s_addc_u32 s9, s2, s0
	s_lshl_b64 s[10:11], s[4:5], 10
	s_mul_i32 s4, s18, s50
	s_mul_hi_u32 s12, s17, s50
	s_mul_i32 s40, s28, s49
	s_mul_hi_u32 s41, s28, s48
	s_and_b32 s35, s8, 0x3ffffff
	s_lshr_b64 s[8:9], s[8:9], 26
	s_add_i32 s12, s12, s4
	s_mul_i32 s14, s26, s51
	s_mul_i32 s19, s27, s52
	s_add_i32 s41, s41, s40
	s_mul_hi_u32 s13, s26, s51
	s_mul_hi_u32 s15, s27, s52
	s_add_u32 s14, s19, s14
	s_mul_i32 s21, s30, s53
	s_addc_u32 s13, s15, s13
	s_mul_hi_u32 s20, s30, s53
	s_add_u32 s14, s14, s21
	s_mul_i32 s23, s29, s54
	s_addc_u32 s13, s13, s20
	;; [unrolled: 4-line block ×5, first 2 shown]
	s_add_u32 s14, s14, s40
	s_mul_i32 s4, s17, s50
	s_addc_u32 s13, s13, s41
	s_add_u32 s4, s14, s4
	s_addc_u32 s12, s13, s12
	s_add_u32 s6, s4, s6
	s_addc_u32 s7, s12, s7
	s_mul_i32 s1, s25, s57
	s_mul_i32 s3, s24, s58
	s_and_b32 s4, s6, 0x3ffffff
	s_lshr_b64 s[6:7], s[6:7], 26
	s_mul_hi_u32 s0, s25, s57
	s_mul_hi_u32 s2, s24, s58
	s_add_u32 s1, s3, s1
	s_addc_u32 s0, s2, s0
	s_add_u32 s1, s1, s10
	s_addc_u32 s0, s0, s11
	s_add_u32 s1, s1, s8
	s_mul_i32 s13, s4, 0x3d10
	s_addc_u32 s0, s0, s9
	s_mul_hi_u32 s12, s4, 0x3d10
	s_add_u32 s8, s1, s13
	s_addc_u32 s9, s0, s12
	s_lshl_b64 s[10:11], s[4:5], 10
	s_mul_i32 s0, s25, s49
	s_mul_hi_u32 s1, s25, s48
	s_mul_i32 s4, s18, s58
	s_mul_hi_u32 s12, s17, s58
	s_and_b32 s36, s8, 0x3ffffff
	s_lshr_b64 s[8:9], s[8:9], 26
	s_add_i32 s1, s1, s0
	s_add_i32 s12, s12, s4
	s_mul_i32 s14, s26, s50
	s_mul_i32 s19, s27, s51
	s_mul_hi_u32 s4, s26, s50
	s_mul_hi_u32 s15, s27, s51
	s_add_u32 s14, s19, s14
	s_mul_i32 s21, s30, s52
	s_addc_u32 s4, s15, s4
	s_mul_hi_u32 s20, s30, s52
	s_add_u32 s14, s14, s21
	s_mul_i32 s23, s29, s53
	s_addc_u32 s4, s4, s20
	;; [unrolled: 4-line block ×5, first 2 shown]
	s_mul_hi_u32 s41, s28, s56
	s_add_u32 s14, s14, s42
	s_addc_u32 s4, s4, s41
	s_add_u32 s6, s14, s6
	s_addc_u32 s7, s4, s7
	s_mul_i32 s0, s25, s48
	s_mul_i32 s3, s24, s57
	s_and_b32 s4, s6, 0x3ffffff
	s_lshr_b64 s[6:7], s[6:7], 26
	s_mul_hi_u32 s2, s24, s57
	s_add_u32 s0, s3, s0
	s_mul_i32 s13, s17, s58
	s_addc_u32 s1, s2, s1
	s_add_u32 s0, s0, s13
	s_addc_u32 s1, s1, s12
	s_add_u32 s0, s0, s10
	s_mul_i32 s15, s4, 0x3d10
	s_addc_u32 s1, s1, s11
	s_mul_hi_u32 s14, s4, 0x3d10
	s_add_u32 s0, s0, s15
	s_addc_u32 s1, s1, s14
	s_add_u32 s8, s0, s8
	s_addc_u32 s9, s1, s9
	s_lshl_b64 s[10:11], s[4:5], 10
	s_mul_i32 s2, s24, s49
	s_mul_hi_u32 s3, s24, s48
	s_mul_i32 s4, s18, s57
	s_mul_hi_u32 s12, s17, s57
	s_and_b32 s37, s8, 0x3ffffff
	s_lshr_b64 s[8:9], s[8:9], 26
	s_add_i32 s3, s3, s2
	s_add_i32 s14, s12, s4
	s_mul_i32 s12, s27, s50
	s_mul_i32 s21, s30, s51
	s_mul_hi_u32 s4, s27, s50
	s_mul_hi_u32 s13, s30, s51
	s_add_u32 s12, s21, s12
	s_mul_i32 s23, s29, s52
	s_addc_u32 s4, s13, s4
	s_mul_hi_u32 s22, s29, s52
	s_add_u32 s12, s12, s23
	s_mul_i32 s39, s31, s53
	s_addc_u32 s4, s4, s22
	s_mul_hi_u32 s38, s31, s53
	s_add_u32 s12, s12, s39
	s_mul_i32 s41, s34, s54
	s_addc_u32 s4, s4, s38
	s_mul_hi_u32 s40, s34, s54
	s_add_u32 s12, s12, s41
	s_mul_i32 s43, s28, s55
	s_addc_u32 s4, s4, s40
	s_mul_hi_u32 s42, s28, s55
	s_add_u32 s12, s12, s43
	s_addc_u32 s4, s4, s42
	s_add_u32 s6, s12, s6
	s_addc_u32 s7, s4, s7
	s_mul_i32 s1, s25, s56
	s_mul_i32 s20, s26, s58
	s_and_b32 s4, s6, 0x3ffffff
	s_lshr_b64 s[12:13], s[6:7], 26
	s_mul_hi_u32 s0, s25, s56
	s_mul_hi_u32 s19, s26, s58
	s_add_u32 s1, s1, s20
	s_mul_i32 s2, s24, s48
	s_addc_u32 s0, s0, s19
	s_add_u32 s1, s1, s2
	s_mul_i32 s15, s17, s57
	s_addc_u32 s0, s0, s3
	s_add_u32 s1, s1, s15
	s_addc_u32 s0, s0, s14
	s_add_u32 s1, s1, s10
	s_mul_i32 s7, s4, 0x3d10
	s_addc_u32 s0, s0, s11
	s_mul_hi_u32 s6, s4, 0x3d10
	s_add_u32 s1, s1, s7
	s_addc_u32 s0, s0, s6
	s_add_u32 s6, s1, s8
	s_addc_u32 s7, s0, s9
	s_lshr_b64 s[8:9], s[6:7], 26
	s_lshl_b64 s[10:11], s[4:5], 10
	s_mul_i32 s4, s17, s49
	s_mul_hi_u32 s7, s17, s48
	s_add_i32 s4, s7, s4
	s_mul_i32 s7, s18, s48
	s_add_i32 s7, s4, s7
	s_mul_i32 s22, s30, s50
	s_mul_i32 s38, s29, s51
	s_mul_hi_u32 s4, s30, s50
	s_mul_hi_u32 s23, s29, s51
	s_add_u32 s22, s38, s22
	s_mul_i32 s40, s31, s52
	s_addc_u32 s4, s23, s4
	s_mul_hi_u32 s39, s31, s52
	s_add_u32 s22, s22, s40
	s_mul_i32 s42, s34, s53
	s_addc_u32 s4, s4, s39
	;; [unrolled: 4-line block ×3, first 2 shown]
	s_mul_hi_u32 s43, s28, s54
	s_add_u32 s22, s22, s44
	s_addc_u32 s4, s4, s43
	s_add_u32 s12, s22, s12
	s_addc_u32 s13, s4, s13
	s_mul_i32 s19, s26, s57
	s_mul_i32 s21, s27, s58
	s_and_b32 s4, s12, 0x3ffffff
	s_lshr_b64 s[12:13], s[12:13], 26
	s_mul_hi_u32 s15, s26, s57
	s_mul_hi_u32 s20, s27, s58
	s_add_u32 s19, s21, s19
	s_mul_i32 s1, s25, s55
	s_addc_u32 s15, s20, s15
	s_mul_hi_u32 s0, s25, s55
	s_add_u32 s1, s19, s1
	s_mul_i32 s3, s24, s56
	s_addc_u32 s0, s15, s0
	;; [unrolled: 4-line block ×3, first 2 shown]
	s_add_u32 s1, s1, s14
	s_addc_u32 s0, s0, s7
	s_add_u32 s1, s1, s10
	s_mul_i32 s23, s4, 0x3d10
	s_addc_u32 s0, s0, s11
	s_mul_hi_u32 s22, s4, 0x3d10
	s_add_u32 s1, s1, s23
	s_addc_u32 s0, s0, s22
	s_add_u32 s8, s1, s8
	s_addc_u32 s9, s0, s9
	s_lshl_b64 s[14:15], s[4:5], 10
	s_mul_i32 s4, s18, s56
	s_mul_hi_u32 s7, s17, s56
	s_add_i32 s7, s7, s4
	s_mul_i32 s4, s26, s49
	s_mul_hi_u32 s19, s26, s48
	s_lshr_b64 s[10:11], s[8:9], 26
	s_add_i32 s19, s19, s4
	s_mul_i32 s39, s29, s50
	s_mul_i32 s41, s31, s51
	s_mul_hi_u32 s4, s29, s50
	s_mul_hi_u32 s40, s31, s51
	s_add_u32 s39, s41, s39
	s_mul_i32 s43, s34, s52
	s_addc_u32 s4, s40, s4
	s_mul_hi_u32 s42, s34, s52
	s_add_u32 s39, s39, s43
	s_mul_i32 s45, s28, s53
	s_addc_u32 s4, s4, s42
	s_mul_hi_u32 s44, s28, s53
	s_add_u32 s39, s39, s45
	s_addc_u32 s4, s4, s44
	s_add_u32 s12, s39, s12
	s_addc_u32 s13, s4, s13
	s_mul_i32 s20, s26, s48
	s_mul_i32 s22, s27, s57
	s_and_b32 s4, s12, 0x3ffffff
	s_lshr_b64 s[12:13], s[12:13], 26
	s_mul_hi_u32 s21, s27, s57
	s_add_u32 s20, s22, s20
	s_mul_i32 s38, s30, s58
	s_addc_u32 s19, s21, s19
	s_mul_hi_u32 s23, s30, s58
	s_add_u32 s20, s20, s38
	s_mul_i32 s1, s25, s54
	s_addc_u32 s19, s19, s23
	;; [unrolled: 4-line block ×4, first 2 shown]
	s_add_u32 s1, s1, s9
	s_addc_u32 s0, s0, s7
	s_add_u32 s1, s1, s14
	s_mul_i32 s40, s4, 0x3d10
	s_addc_u32 s0, s0, s15
	s_mul_hi_u32 s39, s4, 0x3d10
	s_add_u32 s1, s1, s40
	s_addc_u32 s0, s0, s39
	s_add_u32 s10, s1, s10
	s_addc_u32 s11, s0, s11
	s_lshl_b64 s[38:39], s[4:5], 10
	s_mul_i32 s4, s18, s55
	s_mul_hi_u32 s7, s17, s55
	s_add_i32 s7, s7, s4
	s_mul_i32 s4, s27, s49
	s_mul_hi_u32 s20, s27, s48
	s_lshr_b64 s[14:15], s[10:11], 26
	s_add_i32 s20, s20, s4
	s_mul_i32 s40, s31, s50
	s_mul_i32 s44, s34, s51
	s_mul_hi_u32 s4, s31, s50
	s_mul_hi_u32 s41, s34, s51
	s_add_u32 s40, s44, s40
	s_mul_i32 s46, s28, s52
	s_addc_u32 s4, s41, s4
	s_mul_hi_u32 s45, s28, s52
	s_add_u32 s40, s40, s46
	s_addc_u32 s4, s4, s45
	s_add_u32 s12, s40, s12
	s_addc_u32 s13, s4, s13
	s_mul_i32 s19, s26, s56
	s_mul_i32 s21, s27, s48
	s_and_b32 s4, s12, 0x3ffffff
	s_lshr_b64 s[40:41], s[12:13], 26
	s_mul_hi_u32 s11, s26, s56
	s_add_u32 s19, s21, s19
	s_mul_i32 s23, s30, s57
	s_addc_u32 s11, s20, s11
	s_mul_hi_u32 s22, s30, s57
	s_add_u32 s19, s19, s23
	s_mul_i32 s43, s29, s58
	s_addc_u32 s11, s11, s22
	;; [unrolled: 4-line block ×5, first 2 shown]
	s_add_u32 s1, s1, s9
	s_addc_u32 s0, s0, s7
	s_add_u32 s1, s1, s38
	s_mul_i32 s13, s4, 0x3d10
	s_addc_u32 s0, s0, s39
	s_mul_hi_u32 s12, s4, 0x3d10
	s_add_u32 s1, s1, s13
	s_addc_u32 s0, s0, s12
	s_add_u32 s12, s1, s14
	s_addc_u32 s13, s0, s15
	s_lshl_b64 s[38:39], s[4:5], 10
	s_mul_i32 s4, s18, s54
	s_mul_hi_u32 s7, s17, s54
	s_add_i32 s7, s7, s4
	s_mul_i32 s4, s30, s49
	s_mul_hi_u32 s21, s30, s48
	s_lshr_b64 s[14:15], s[12:13], 26
	s_add_i32 s21, s21, s4
	s_mul_i32 s45, s34, s50
	s_mul_i32 s47, s28, s51
	s_mul_hi_u32 s4, s34, s50
	s_mul_hi_u32 s46, s28, s51
	s_add_u32 s45, s47, s45
	s_addc_u32 s4, s46, s4
	s_add_u32 s40, s45, s40
	s_addc_u32 s41, s4, s41
	s_mul_i32 s13, s26, s55
	s_mul_i32 s20, s27, s56
	s_and_b32 s4, s40, 0x3ffffff
	s_lshr_b64 s[40:41], s[40:41], 26
	s_mul_hi_u32 s11, s26, s55
	s_mul_hi_u32 s19, s27, s56
	s_add_u32 s13, s20, s13
	s_mul_i32 s22, s30, s48
	s_addc_u32 s11, s19, s11
	s_add_u32 s13, s13, s22
	s_mul_i32 s42, s29, s57
	s_addc_u32 s11, s11, s21
	s_mul_hi_u32 s23, s29, s57
	s_add_u32 s13, s13, s42
	s_mul_i32 s44, s31, s58
	s_addc_u32 s11, s11, s23
	s_mul_hi_u32 s43, s31, s58
	;; [unrolled: 4-line block ×4, first 2 shown]
	s_add_u32 s1, s1, s3
	s_mul_i32 s9, s17, s54
	s_addc_u32 s0, s0, s2
	s_add_u32 s1, s1, s9
	s_addc_u32 s0, s0, s7
	s_add_u32 s1, s1, s38
	s_mul_i32 s46, s4, 0x3d10
	s_addc_u32 s0, s0, s39
	s_mul_hi_u32 s45, s4, 0x3d10
	s_add_u32 s1, s1, s46
	s_addc_u32 s0, s0, s45
	s_add_u32 s14, s1, s14
	s_addc_u32 s15, s0, s15
	s_mul_i32 s0, s18, s53
	s_mul_hi_u32 s1, s17, s53
	s_add_i32 s7, s1, s0
	s_mul_i32 s0, s29, s49
	s_mul_hi_u32 s1, s29, s48
	s_lshr_b64 s[38:39], s[14:15], 26
	s_lshl_b64 s[42:43], s[4:5], 10
	s_mul_i32 s9, s17, s53
	s_add_i32 s17, s1, s0
	s_mul_hi_u32 s1, s28, s50
	s_mul_i32 s28, s28, s50
	s_add_u32 s0, s40, s28
	s_addc_u32 s1, s41, s1
	s_mul_hi_u32 s11, s26, s54
	s_mul_i32 s26, s26, s54
	s_mul_hi_u32 s13, s27, s55
	s_mul_i32 s27, s27, s55
	s_and_b32 s4, s0, 0x3ffffff
	s_lshr_b64 s[18:19], s[0:1], 26
	s_add_u32 s22, s27, s26
	s_mul_hi_u32 s15, s30, s56
	s_mul_i32 s30, s30, s56
	s_addc_u32 s11, s13, s11
	s_add_u32 s13, s22, s30
	s_mul_i32 s29, s29, s48
	s_addc_u32 s11, s11, s15
	s_add_u32 s13, s13, s29
	s_mul_hi_u32 s20, s31, s57
	s_mul_i32 s31, s31, s57
	s_addc_u32 s11, s11, s17
	s_add_u32 s13, s13, s31
	s_mul_hi_u32 s21, s34, s58
	;; [unrolled: 4-line block ×4, first 2 shown]
	s_mul_i32 s24, s24, s52
	s_addc_u32 s2, s11, s2
	s_add_u32 s11, s13, s24
	s_addc_u32 s2, s2, s3
	s_add_u32 s3, s11, s9
	;; [unrolled: 2-line block ×3, first 2 shown]
	s_mul_i32 s1, s4, 0x3d10
	s_addc_u32 s2, s2, s43
	s_mul_hi_u32 s0, s4, 0x3d10
	s_add_u32 s1, s3, s1
	s_addc_u32 s2, s2, s0
	s_add_u32 s0, s1, s38
	s_addc_u32 s1, s2, s39
	s_lshr_b64 s[24:25], s[0:1], 26
	s_lshl_b64 s[26:27], s[4:5], 10
	s_mul_i32 s2, s18, 0x3d10
	s_mul_hi_u32 s1, s18, 0x3d10
	s_add_u32 s2, s2, s16
	s_addc_u32 s1, s1, 0
	s_add_u32 s2, s2, s26
	s_addc_u32 s1, s1, s27
	;; [unrolled: 2-line block ×3, first 2 shown]
	s_lshr_b64 s[16:17], s[26:27], 22
	s_lshl_b64 s[18:19], s[18:19], 14
	s_add_u32 s16, s16, s18
	s_addc_u32 s17, s17, s19
	s_mul_i32 s1, s17, 0x3d1
	s_mul_hi_u32 s2, s16, 0x3d1
	s_add_i32 s2, s2, s1
	s_mul_i32 s1, s16, 0x3d1
	s_add_u32 s24, s1, s35
	s_addc_u32 s25, s2, 0
	s_lshr_b64 s[18:19], s[24:25], 26
	s_lshl_b64 s[16:17], s[16:17], 6
	s_add_u32 s1, s16, s36
	s_addc_u32 s2, s17, 0
	s_add_u32 s16, s1, s18
	s_addc_u32 s17, s2, s19
	s_lshr_b64 s[18:19], s[16:17], 26
	s_add_u32 s15, s18, s37
	v_readlane_b32 s92, v15, 23
	s_addc_u32 s17, s19, 0
	s_mov_b32 s18, 23
	v_readlane_b32 s93, v15, 24
.LBB0_21:                               ; =>This Inner Loop Header: Depth=1
	s_lshl_b32 s21, s16, 1
	s_lshl_b32 s27, s6, 1
	;; [unrolled: 1-line block ×4, first 2 shown]
	s_and_b32 s13, s12, 0x3ffffff
	s_and_b32 s4, s10, 0x3ffffff
	;; [unrolled: 1-line block ×7, first 2 shown]
	s_lshl_b32 s9, s15, 1
	s_and_b32 s7, s14, 0x3ffffff
	s_and_b32 s30, s19, 0x7fffffe
	s_mul_i32 s47, s13, s27
	s_mul_i32 s56, s21, s4
	s_mul_hi_u32 s23, s13, s27
	s_mul_hi_u32 s51, s21, s4
	s_add_u32 s56, s47, s56
	s_mul_i32 s48, s7, s9
	s_addc_u32 s23, s23, s51
	s_mul_hi_u32 s50, s7, s9
	s_add_u32 s51, s56, s48
	s_mul_i32 s22, s11, s28
	s_addc_u32 s23, s23, s50
	s_mul_hi_u32 s20, s11, s28
	s_add_u32 s22, s51, s22
	s_mul_hi_u32 s55, s4, s4
	s_mul_i32 s19, s4, s4
	s_mul_hi_u32 s39, s4, s9
	s_mul_i32 s40, s4, s9
	s_mul_i32 s3, s1, s30
	s_mul_hi_u32 s61, s4, s30
	s_mul_i32 s62, s4, s30
	s_mul_hi_u32 s59, s4, s28
	;; [unrolled: 2-line block ×3, first 2 shown]
	s_mul_i32 s56, s4, s27
	s_addc_u32 s4, s23, s20
	s_mul_hi_u32 s2, s1, s30
	s_add_u32 s64, s22, s3
	s_addc_u32 s65, s4, s2
	s_mul_i32 s70, s13, s21
	s_and_b32 s2, s24, 0x3ffffff
	s_and_b32 s24, s64, 0x3fffffe
	s_lshr_b64 s[64:65], s[64:65], 26
	s_mul_hi_u32 s69, s13, s21
	s_add_u32 s4, s70, s19
	s_mul_i32 s68, s7, s27
	s_addc_u32 s19, s69, s55
	s_mul_hi_u32 s67, s7, s27
	s_add_u32 s4, s4, s68
	s_mul_i32 s52, s11, s9
	s_addc_u32 s19, s19, s67
	;; [unrolled: 4-line block ×3, first 2 shown]
	s_mul_hi_u32 s63, s1, s28
	s_add_u32 s4, s4, s66
	s_addc_u32 s19, s19, s63
	s_add_u32 s64, s4, s64
	s_addc_u32 s65, s19, s65
	s_and_b32 s4, s64, 0x3ffffff
	s_mul_hi_u32 s3, s2, s2
	s_mul_i32 s2, s2, s2
	s_lshr_b64 s[64:65], s[64:65], 26
	s_mul_i32 s20, s4, 0x3d10
	s_mul_hi_u32 s19, s4, 0x3d10
	s_add_u32 s66, s20, s2
	s_addc_u32 s67, s19, s3
	s_lshl_b32 s3, s10, 1
	s_and_b32 s3, s3, 0x7fffffe
	s_mul_hi_u32 s43, s13, s13
	s_mul_i32 s44, s13, s13
	s_mul_hi_u32 s35, s13, s9
	s_mul_i32 s36, s13, s9
	;; [unrolled: 2-line block ×7, first 2 shown]
	s_and_b32 s49, s66, 0x3fffffd
	s_lshl_b64 s[68:69], s[4:5], 10
	s_and_b32 s2, s16, 0x3ffffff
	s_lshr_b64 s[66:67], s[66:67], 26
	s_mul_hi_u32 s4, s3, s13
	s_mul_i32 s13, s3, s13
	s_add_u32 s13, s74, s13
	s_mul_i32 s72, s11, s27
	s_addc_u32 s4, s73, s4
	s_mul_hi_u32 s71, s11, s27
	s_add_u32 s13, s13, s72
	s_mul_i32 s46, s1, s9
	s_addc_u32 s4, s4, s71
	s_mul_hi_u32 s45, s1, s9
	s_add_u32 s13, s13, s46
	s_addc_u32 s4, s4, s45
	s_add_u32 s64, s13, s64
	s_addc_u32 s65, s4, s65
	s_mul_i32 s16, s30, s2
	s_and_b32 s4, s64, 0x3ffffff
	s_lshr_b64 s[64:65], s[64:65], 26
	s_mul_hi_u32 s10, s30, s2
	s_add_u32 s16, s68, s16
	s_addc_u32 s10, s69, s10
	s_add_u32 s16, s16, s66
	s_mul_i32 s45, s4, 0x3d10
	s_addc_u32 s10, s10, s67
	s_mul_hi_u32 s13, s4, 0x3d10
	s_add_u32 s66, s16, s45
	s_mul_i32 s75, s30, s17
	s_mul_hi_u32 s76, s30, s15
	s_addc_u32 s67, s10, s13
	s_mul_i32 s22, s7, s3
	s_and_b32 s16, s66, 0x3ffffff
	s_lshl_b64 s[68:69], s[4:5], 10
	s_add_i32 s76, s76, s75
	s_lshr_b64 s[66:67], s[66:67], 26
	s_mul_hi_u32 s20, s7, s3
	s_add_u32 s4, s22, s44
	s_addc_u32 s10, s20, s43
	s_add_u32 s4, s4, s81
	s_mul_i32 s79, s1, s27
	s_addc_u32 s10, s10, s80
	s_mul_hi_u32 s78, s1, s27
	s_add_u32 s4, s4, s79
	s_addc_u32 s10, s10, s78
	s_add_u32 s44, s4, s64
	s_addc_u32 s45, s10, s65
	s_mul_i32 s77, s30, s15
	s_mul_hi_u32 s19, s2, s2
	s_mul_i32 s2, s2, s2
	s_and_b32 s4, s44, 0x3ffffff
	s_lshr_b64 s[44:45], s[44:45], 26
	s_add_u32 s2, s77, s2
	s_addc_u32 s19, s76, s19
	s_add_u32 s2, s2, s68
	s_mul_i32 s13, s4, 0x3d10
	s_addc_u32 s19, s19, s69
	s_mul_hi_u32 s10, s4, 0x3d10
	s_add_u32 s2, s2, s13
	s_addc_u32 s10, s19, s10
	s_add_u32 s64, s2, s66
	s_addc_u32 s65, s10, s67
	s_lshl_b64 s[66:67], s[4:5], 10
	s_lshl_b32 s4, s12, 1
	s_mul_i32 s82, s28, s17
	s_mul_hi_u32 s83, s28, s15
	s_and_b32 s4, s4, 0x7fffffe
	s_mul_i32 s26, s15, s17
	s_mul_hi_u32 s29, s15, s15
	s_mul_i32 s25, s15, s15
	s_mul_hi_u32 s31, s7, s7
	s_mul_i32 s34, s7, s7
	s_mul_i32 s84, s28, s15
	s_mul_hi_u32 s15, s7, s30
	s_mul_i32 s53, s7, s30
	s_mul_hi_u32 s48, s7, s28
	s_mul_i32 s50, s7, s28
	s_mul_i32 s52, s11, s3
	s_and_b32 s19, s64, 0x3ffffff
	s_and_b32 s2, s6, 0x3ffffff
	s_add_i32 s83, s83, s82
	s_lshr_b64 s[12:13], s[64:65], 26
	s_mul_hi_u32 s6, s4, s7
	s_mul_i32 s7, s4, s7
	s_mul_hi_u32 s23, s11, s3
	s_mul_hi_u32 s69, s11, s4
	s_mul_i32 s70, s11, s4
	s_mul_hi_u32 s71, s1, s4
	s_mul_i32 s72, s1, s4
	s_add_u32 s4, s52, s7
	s_addc_u32 s6, s23, s6
	s_add_u32 s4, s4, s86
	s_addc_u32 s7, s6, s85
	;; [unrolled: 2-line block ×3, first 2 shown]
	s_mul_i32 s20, s2, s30
	s_and_b32 s4, s6, 0x3ffffff
	s_lshr_b64 s[44:45], s[6:7], 26
	s_mul_hi_u32 s10, s2, s30
	s_add_u32 s20, s20, s84
	s_addc_u32 s10, s10, s83
	s_add_u32 s20, s20, s66
	s_mul_i32 s7, s4, 0x3d10
	s_addc_u32 s10, s10, s67
	s_mul_hi_u32 s6, s4, 0x3d10
	s_add_u32 s7, s20, s7
	s_addc_u32 s10, s10, s6
	s_add_u32 s6, s7, s12
	s_addc_u32 s7, s10, s13
	s_lshl_b64 s[12:13], s[4:5], 10
	s_and_b32 s4, s8, 0x3ffffff
	s_add_i32 s8, s29, s26
	s_lshr_b64 s[64:65], s[6:7], 26
	s_add_i32 s20, s8, s26
	s_mul_hi_u32 s17, s11, s30
	s_mul_i32 s47, s11, s30
	s_mul_hi_u32 s7, s4, s30
	s_mul_i32 s10, s4, s30
	;; [unrolled: 2-line block ×6, first 2 shown]
	s_add_u32 s4, s70, s34
	s_mul_hi_u32 s55, s1, s3
	s_mul_i32 s3, s1, s3
	s_addc_u32 s8, s69, s31
	s_add_u32 s3, s4, s3
	s_addc_u32 s4, s8, s55
	s_add_u32 s8, s3, s44
	s_mul_hi_u32 s46, s9, s2
	s_mul_i32 s63, s9, s2
	s_addc_u32 s9, s4, s45
	s_mul_i32 s43, s2, s28
	s_and_b32 s4, s8, 0x3ffffff
	s_lshr_b64 s[26:27], s[8:9], 26
	s_mul_hi_u32 s22, s2, s28
	s_add_u32 s9, s43, s25
	s_addc_u32 s20, s22, s20
	s_add_u32 s9, s9, s10
	s_addc_u32 s7, s20, s7
	s_add_u32 s9, s9, s12
	s_mul_i32 s8, s4, 0x3d10
	s_addc_u32 s7, s7, s13
	s_mul_hi_u32 s3, s4, 0x3d10
	s_add_u32 s8, s9, s8
	s_addc_u32 s3, s7, s3
	s_add_u32 s8, s8, s64
	s_addc_u32 s9, s3, s65
	s_lshl_b32 s3, s14, 1
	s_and_b32 s3, s3, 0x7fffffe
	s_lshl_b64 s[12:13], s[4:5], 10
	s_lshr_b64 s[28:29], s[8:9], 26
	s_mul_i32 s7, s3, s11
	s_mul_hi_u32 s4, s3, s11
	s_add_u32 s7, s72, s7
	s_addc_u32 s4, s71, s4
	s_add_u32 s10, s7, s26
	s_mul_hi_u32 s37, s11, s11
	s_mul_i32 s38, s11, s11
	s_addc_u32 s11, s4, s27
	s_and_b32 s4, s10, 0x3ffffff
	s_lshr_b64 s[26:27], s[10:11], 26
	s_add_u32 s11, s30, s63
	s_addc_u32 s14, s23, s46
	s_add_u32 s11, s11, s62
	s_addc_u32 s14, s14, s61
	s_add_u32 s11, s11, s12
	s_mul_i32 s10, s4, 0x3d10
	s_addc_u32 s12, s14, s13
	s_mul_hi_u32 s7, s4, 0x3d10
	s_add_u32 s10, s11, s10
	s_addc_u32 s7, s12, s7
	s_add_u32 s10, s10, s28
	s_addc_u32 s11, s7, s29
	s_mul_hi_u32 s9, s1, s3
	s_mul_i32 s3, s1, s3
	s_lshl_b64 s[12:13], s[4:5], 10
	s_lshr_b64 s[28:29], s[10:11], 26
	s_add_u32 s3, s3, s38
	s_addc_u32 s4, s9, s37
	s_add_u32 s26, s3, s26
	s_addc_u32 s27, s4, s27
	s_mul_hi_u32 s68, s2, s2
	s_mul_i32 s2, s2, s2
	s_and_b32 s4, s26, 0x3ffffff
	s_lshr_b64 s[26:27], s[26:27], 26
	s_add_u32 s2, s66, s2
	s_addc_u32 s9, s52, s68
	s_add_u32 s2, s2, s60
	s_addc_u32 s9, s9, s59
	;; [unrolled: 2-line block ×3, first 2 shown]
	s_add_u32 s2, s2, s12
	s_mul_i32 s7, s4, 0x3d10
	s_addc_u32 s9, s9, s13
	s_mul_hi_u32 s3, s4, 0x3d10
	s_add_u32 s2, s2, s7
	s_addc_u32 s3, s9, s3
	s_add_u32 s12, s2, s28
	s_addc_u32 s13, s3, s29
	s_lshl_b32 s0, s0, 1
	s_and_b32 s0, s0, 0x7fffffe
	s_lshl_b64 s[28:29], s[4:5], 10
	s_lshr_b64 s[30:31], s[12:13], 26
	s_mul_hi_u32 s2, s0, s1
	s_mul_i32 s0, s0, s1
	s_add_u32 s0, s26, s0
	s_mul_hi_u32 s41, s1, s1
	s_mul_i32 s42, s1, s1
	s_addc_u32 s1, s27, s2
	s_and_b32 s4, s0, 0x3ffffff
	s_lshr_b64 s[0:1], s[0:1], 26
	s_add_u32 s7, s40, s73
	s_addc_u32 s9, s39, s67
	s_add_u32 s7, s7, s57
	s_addc_u32 s9, s9, s21
	;; [unrolled: 2-line block ×3, first 2 shown]
	s_add_u32 s7, s7, s28
	s_mul_i32 s3, s4, 0x3d10
	s_addc_u32 s9, s9, s29
	s_mul_hi_u32 s2, s4, 0x3d10
	s_add_u32 s3, s7, s3
	s_addc_u32 s2, s9, s2
	s_add_u32 s14, s3, s30
	s_addc_u32 s15, s2, s31
	s_lshl_b64 s[26:27], s[4:5], 10
	s_lshr_b64 s[28:29], s[14:15], 26
	s_add_u32 s0, s0, s42
	s_addc_u32 s1, s1, s41
	s_and_b32 s4, s0, 0x3ffffff
	s_lshr_b64 s[30:31], s[0:1], 26
	s_add_u32 s2, s56, s75
	s_addc_u32 s9, s51, s74
	s_add_u32 s2, s2, s36
	s_addc_u32 s9, s9, s35
	;; [unrolled: 2-line block ×4, first 2 shown]
	s_add_u32 s2, s2, s26
	s_mul_i32 s1, s4, 0x3d10
	s_addc_u32 s9, s9, s27
	s_mul_hi_u32 s0, s4, 0x3d10
	s_add_u32 s1, s2, s1
	s_addc_u32 s2, s9, s0
	s_add_u32 s0, s1, s28
	s_addc_u32 s1, s2, s29
	s_mul_i32 s7, s30, 0x3d10
	s_lshl_b64 s[26:27], s[4:5], 10
	s_lshr_b64 s[28:29], s[0:1], 26
	s_mul_hi_u32 s3, s30, 0x3d10
	s_add_u32 s1, s7, s24
	s_addc_u32 s2, s3, 0
	s_add_u32 s1, s1, s26
	s_addc_u32 s2, s2, s27
	;; [unrolled: 2-line block ×3, first 2 shown]
	s_lshl_b64 s[24:25], s[30:31], 14
	s_lshr_b64 s[28:29], s[26:27], 22
	s_add_u32 s28, s28, s24
	s_addc_u32 s29, s29, s25
	s_mul_hi_u32 s1, s28, 0x3d1
	s_mul_i32 s3, s29, 0x3d1
	s_mul_i32 s2, s28, 0x3d1
	s_add_i32 s1, s1, s3
	s_add_u32 s24, s2, s49
	s_addc_u32 s25, s1, 0
	s_lshl_b64 s[28:29], s[28:29], 6
	s_lshr_b64 s[30:31], s[24:25], 26
	s_add_u32 s1, s28, s16
	s_addc_u32 s2, s29, 0
	s_add_u32 s16, s1, s30
	s_addc_u32 s17, s2, s31
	s_lshr_b64 s[28:29], s[16:17], 26
	s_add_u32 s15, s28, s19
	s_addc_u32 s17, s29, 0
	s_add_i32 s18, s18, -1
	s_cmp_lg_u32 s18, 0
	s_cbranch_scc1 .LBB0_21
; %bb.22:
	v_readlane_b32 s48, v15, 38
	v_readlane_b32 s52, v15, 43
	s_and_b32 s29, s14, 0x3ffffff
	v_readlane_b32 s49, v15, 39
	s_and_b32 s18, s24, 0x3ffffff
	s_mul_i32 s5, s17, s52
	s_mul_hi_u32 s7, s15, s52
	s_and_b32 s24, s6, 0x3ffffff
	v_readlane_b32 s53, v15, 44
	s_and_b32 s25, s8, 0x3ffffff
	v_readlane_b32 s54, v15, 45
	s_mul_i32 s14, s29, s49
	s_mul_hi_u32 s20, s29, s48
	s_and_b32 s16, s16, 0x3ffffff
	s_add_i32 s7, s7, s5
	s_mul_i32 s9, s24, s53
	s_mul_i32 s11, s25, s54
	s_and_b32 s28, s10, 0x3ffffff
	s_and_b32 s27, s12, 0x3ffffff
	s_add_i32 s20, s20, s14
	s_and_b32 s30, s0, 0x3ffffff
	s_and_b32 s26, s26, 0x3fffff
	s_mul_hi_u32 s6, s24, s53
	s_mul_hi_u32 s8, s25, s54
	v_readlane_b32 s55, v15, 46
	s_add_u32 s9, s11, s9
	s_mul_i32 s13, s28, s55
	s_addc_u32 s6, s8, s6
	s_mul_hi_u32 s10, s28, s55
	v_readlane_b32 s56, v15, 47
	s_add_u32 s8, s9, s13
	s_mul_i32 s19, s27, s56
	s_addc_u32 s6, s6, s10
	s_mul_hi_u32 s12, s27, s56
	s_add_u32 s8, s8, s19
	s_mul_i32 s14, s29, s48
	s_addc_u32 s6, s6, s12
	v_readlane_b32 s57, v15, 48
	s_add_u32 s8, s8, s14
	s_mul_i32 s21, s30, s57
	s_addc_u32 s6, s6, s20
	s_mul_hi_u32 s0, s30, s57
	v_readlane_b32 s58, v15, 49
	s_add_u32 s8, s8, s21
	s_mul_i32 s23, s26, s58
	s_addc_u32 s0, s6, s0
	v_readlane_b32 s50, v15, 40
	s_mul_hi_u32 s22, s26, s58
	s_add_u32 s6, s8, s23
	s_mul_i32 s2, s18, s50
	s_addc_u32 s0, s0, s22
	s_mul_hi_u32 s1, s18, s50
	v_readlane_b32 s51, v15, 42
	s_add_u32 s2, s6, s2
	s_mul_i32 s4, s16, s51
	s_addc_u32 s0, s0, s1
	s_mul_hi_u32 s3, s16, s51
	s_add_u32 s1, s2, s4
	s_mul_i32 s5, s15, s52
	s_addc_u32 s0, s0, s3
	s_add_u32 s4, s1, s5
	s_addc_u32 s5, s0, s7
	s_mul_i32 s7, s17, s51
	s_mul_hi_u32 s8, s15, s51
	s_mul_i32 s31, s30, s49
	s_mul_hi_u32 s34, s30, s48
	s_and_b32 s14, s4, 0x3ffffff
	s_lshr_b64 s[4:5], s[4:5], 26
	s_add_i32 s8, s8, s7
	s_mul_i32 s10, s24, s52
	s_mul_i32 s12, s25, s53
	s_add_i32 s34, s34, s31
	s_mul_hi_u32 s9, s24, s52
	s_mul_hi_u32 s11, s25, s53
	s_add_u32 s10, s12, s10
	s_mul_i32 s19, s28, s54
	s_addc_u32 s9, s11, s9
	s_mul_hi_u32 s13, s28, s54
	s_add_u32 s10, s10, s19
	s_mul_i32 s21, s27, s55
	s_addc_u32 s9, s9, s13
	s_mul_hi_u32 s20, s27, s55
	s_add_u32 s10, s10, s21
	s_mul_i32 s23, s29, s56
	s_addc_u32 s9, s9, s20
	s_mul_hi_u32 s22, s29, s56
	s_add_u32 s10, s10, s23
	s_mul_i32 s31, s30, s48
	s_addc_u32 s9, s9, s22
	s_add_u32 s10, s10, s31
	s_mul_i32 s36, s26, s57
	s_addc_u32 s9, s9, s34
	s_mul_hi_u32 s35, s26, s57
	s_add_u32 s10, s10, s36
	s_mul_i32 s6, s16, s50
	s_addc_u32 s9, s9, s35
	s_mul_hi_u32 s0, s16, s50
	s_add_u32 s6, s10, s6
	s_mul_i32 s7, s15, s51
	s_addc_u32 s0, s9, s0
	s_add_u32 s6, s6, s7
	s_addc_u32 s0, s0, s8
	s_add_u32 s4, s6, s4
	s_addc_u32 s5, s0, s5
	s_and_b32 s0, s4, 0x3ffffff
	s_mul_i32 s3, s18, s58
	s_lshr_b64 s[4:5], s[4:5], 26
	s_mul_i32 s6, s0, 0x3d10
	s_mov_b32 s1, 0
	s_mul_hi_u32 s2, s18, s58
	s_mul_hi_u32 s7, s0, 0x3d10
	s_add_u32 s6, s6, s3
	s_addc_u32 s7, s7, s2
	s_lshl_b64 s[8:9], s[0:1], 10
	s_mul_i32 s0, s17, s50
	s_mul_hi_u32 s12, s15, s50
	s_mul_i32 s40, s26, s49
	s_mul_hi_u32 s41, s26, s48
	s_and_b32 s31, s6, 0x3ffffff
	s_lshr_b64 s[6:7], s[6:7], 26
	s_add_i32 s12, s12, s0
	s_mul_i32 s19, s24, s51
	s_mul_i32 s21, s25, s52
	s_add_i32 s41, s41, s40
	s_mul_hi_u32 s13, s24, s51
	s_mul_hi_u32 s20, s25, s52
	s_add_u32 s19, s21, s19
	s_mul_i32 s23, s28, s53
	s_addc_u32 s13, s20, s13
	s_mul_hi_u32 s22, s28, s53
	s_add_u32 s19, s19, s23
	s_mul_i32 s35, s27, s54
	s_addc_u32 s13, s13, s22
	;; [unrolled: 4-line block ×5, first 2 shown]
	s_add_u32 s19, s19, s40
	s_mul_i32 s0, s15, s50
	s_addc_u32 s13, s13, s41
	s_add_u32 s0, s19, s0
	s_addc_u32 s12, s13, s12
	s_add_u32 s4, s0, s4
	s_addc_u32 s5, s12, s5
	s_mul_i32 s3, s18, s57
	s_mul_i32 s11, s16, s58
	s_and_b32 s0, s4, 0x3ffffff
	s_lshr_b64 s[4:5], s[4:5], 26
	s_mul_hi_u32 s2, s18, s57
	s_mul_hi_u32 s10, s16, s58
	s_add_u32 s3, s11, s3
	s_addc_u32 s2, s10, s2
	s_add_u32 s3, s3, s8
	s_addc_u32 s2, s2, s9
	s_add_u32 s3, s3, s6
	s_mul_i32 s13, s0, 0x3d10
	s_addc_u32 s2, s2, s7
	s_mul_hi_u32 s12, s0, 0x3d10
	s_add_u32 s6, s3, s13
	s_addc_u32 s7, s2, s12
	s_lshl_b64 s[8:9], s[0:1], 10
	s_mul_i32 s0, s18, s49
	s_mul_hi_u32 s2, s18, s48
	s_add_i32 s2, s2, s0
	s_mul_i32 s0, s17, s58
	s_mul_hi_u32 s12, s15, s58
	s_and_b32 s34, s6, 0x3ffffff
	s_lshr_b64 s[6:7], s[6:7], 26
	s_add_i32 s12, s12, s0
	s_mul_i32 s19, s24, s50
	s_mul_i32 s21, s25, s51
	s_mul_hi_u32 s0, s24, s50
	s_mul_hi_u32 s20, s25, s51
	s_add_u32 s19, s21, s19
	s_mul_i32 s23, s28, s52
	s_addc_u32 s0, s20, s0
	s_mul_hi_u32 s22, s28, s52
	s_add_u32 s19, s19, s23
	s_mul_i32 s36, s27, s53
	s_addc_u32 s0, s0, s22
	;; [unrolled: 4-line block ×5, first 2 shown]
	s_mul_hi_u32 s41, s26, s56
	s_add_u32 s19, s19, s42
	s_addc_u32 s0, s0, s41
	s_add_u32 s4, s19, s4
	s_addc_u32 s5, s0, s5
	s_mul_i32 s3, s18, s48
	s_mul_i32 s11, s16, s57
	s_and_b32 s0, s4, 0x3ffffff
	s_lshr_b64 s[4:5], s[4:5], 26
	s_mul_hi_u32 s10, s16, s57
	s_add_u32 s3, s11, s3
	s_mul_i32 s13, s15, s58
	s_addc_u32 s2, s10, s2
	s_add_u32 s3, s3, s13
	s_addc_u32 s2, s2, s12
	s_add_u32 s3, s3, s8
	s_mul_i32 s20, s0, 0x3d10
	s_addc_u32 s2, s2, s9
	s_mul_hi_u32 s19, s0, 0x3d10
	s_add_u32 s3, s3, s20
	s_addc_u32 s2, s2, s19
	s_add_u32 s6, s3, s6
	s_addc_u32 s7, s2, s7
	s_lshl_b64 s[8:9], s[0:1], 10
	s_mul_i32 s0, s16, s49
	s_mul_hi_u32 s10, s16, s48
	s_add_i32 s12, s10, s0
	s_mul_i32 s0, s17, s57
	s_mul_hi_u32 s10, s15, s57
	s_and_b32 s35, s6, 0x3ffffff
	s_lshr_b64 s[6:7], s[6:7], 26
	s_add_i32 s19, s10, s0
	s_mul_i32 s10, s25, s50
	s_mul_i32 s23, s28, s51
	s_mul_hi_u32 s0, s25, s50
	s_mul_hi_u32 s11, s28, s51
	s_add_u32 s10, s23, s10
	s_mul_i32 s37, s27, s52
	s_addc_u32 s0, s11, s0
	s_mul_hi_u32 s36, s27, s52
	s_add_u32 s10, s10, s37
	s_mul_i32 s39, s29, s53
	s_addc_u32 s0, s0, s36
	;; [unrolled: 4-line block ×4, first 2 shown]
	s_mul_hi_u32 s42, s26, s55
	s_add_u32 s10, s10, s43
	s_addc_u32 s0, s0, s42
	s_add_u32 s4, s10, s4
	s_addc_u32 s5, s0, s5
	s_mul_i32 s3, s18, s56
	s_mul_i32 s22, s24, s58
	s_and_b32 s0, s4, 0x3ffffff
	s_lshr_b64 s[10:11], s[4:5], 26
	s_mul_hi_u32 s2, s18, s56
	s_mul_hi_u32 s21, s24, s58
	s_add_u32 s3, s3, s22
	s_mul_i32 s13, s16, s48
	s_addc_u32 s2, s2, s21
	s_add_u32 s3, s3, s13
	s_mul_i32 s20, s15, s57
	s_addc_u32 s2, s2, s12
	s_add_u32 s3, s3, s20
	s_addc_u32 s2, s2, s19
	s_add_u32 s3, s3, s8
	s_mul_i32 s5, s0, 0x3d10
	s_addc_u32 s2, s2, s9
	s_mul_hi_u32 s4, s0, 0x3d10
	s_add_u32 s3, s3, s5
	s_addc_u32 s2, s2, s4
	s_add_u32 s4, s3, s6
	s_addc_u32 s5, s2, s7
	s_lshl_b64 s[8:9], s[0:1], 10
	s_mul_i32 s0, s15, s49
	s_mul_hi_u32 s13, s15, s48
	s_add_i32 s0, s13, s0
	s_mul_i32 s13, s17, s48
	s_lshr_b64 s[6:7], s[4:5], 26
	s_add_i32 s13, s0, s13
	s_mul_i32 s36, s28, s50
	s_mul_i32 s38, s27, s51
	s_mul_hi_u32 s0, s28, s50
	s_mul_hi_u32 s37, s27, s51
	s_add_u32 s36, s38, s36
	s_mul_i32 s40, s29, s52
	s_addc_u32 s0, s37, s0
	s_mul_hi_u32 s39, s29, s52
	s_add_u32 s36, s36, s40
	s_mul_i32 s42, s30, s53
	s_addc_u32 s0, s0, s39
	;; [unrolled: 4-line block ×3, first 2 shown]
	s_mul_hi_u32 s43, s26, s54
	s_add_u32 s36, s36, s44
	s_addc_u32 s0, s0, s43
	s_add_u32 s10, s36, s10
	s_addc_u32 s11, s0, s11
	s_mul_i32 s21, s24, s57
	s_mul_i32 s23, s25, s58
	s_and_b32 s0, s10, 0x3ffffff
	s_lshr_b64 s[10:11], s[10:11], 26
	s_mul_hi_u32 s20, s24, s57
	s_mul_hi_u32 s22, s25, s58
	s_add_u32 s21, s23, s21
	s_mul_i32 s3, s18, s55
	s_addc_u32 s20, s22, s20
	s_mul_hi_u32 s2, s18, s55
	s_add_u32 s3, s21, s3
	s_mul_i32 s12, s16, s56
	s_addc_u32 s2, s20, s2
	;; [unrolled: 4-line block ×3, first 2 shown]
	s_add_u32 s3, s3, s19
	s_addc_u32 s2, s2, s13
	s_add_u32 s3, s3, s8
	s_mul_i32 s37, s0, 0x3d10
	s_addc_u32 s2, s2, s9
	s_mul_hi_u32 s36, s0, 0x3d10
	s_add_u32 s3, s3, s37
	s_addc_u32 s2, s2, s36
	s_add_u32 s6, s3, s6
	s_addc_u32 s7, s2, s7
	s_lshl_b64 s[12:13], s[0:1], 10
	s_mul_i32 s0, s17, s56
	s_mul_hi_u32 s19, s15, s56
	s_add_i32 s19, s19, s0
	s_mul_i32 s0, s24, s49
	s_mul_hi_u32 s21, s24, s48
	s_lshr_b64 s[8:9], s[6:7], 26
	s_add_i32 s21, s21, s0
	s_mul_i32 s39, s27, s50
	s_mul_i32 s41, s29, s51
	s_mul_hi_u32 s0, s27, s50
	s_mul_hi_u32 s40, s29, s51
	s_add_u32 s39, s41, s39
	s_mul_i32 s43, s30, s52
	s_addc_u32 s0, s40, s0
	s_mul_hi_u32 s42, s30, s52
	s_add_u32 s39, s39, s43
	s_mul_i32 s45, s26, s53
	s_addc_u32 s0, s0, s42
	s_mul_hi_u32 s44, s26, s53
	s_add_u32 s39, s39, s45
	s_addc_u32 s0, s0, s44
	s_add_u32 s10, s39, s10
	s_addc_u32 s11, s0, s11
	s_mul_i32 s22, s24, s48
	s_mul_i32 s36, s25, s57
	s_and_b32 s0, s10, 0x3ffffff
	s_lshr_b64 s[10:11], s[10:11], 26
	s_mul_hi_u32 s23, s25, s57
	s_add_u32 s22, s36, s22
	s_mul_i32 s38, s28, s58
	s_addc_u32 s21, s23, s21
	s_mul_hi_u32 s37, s28, s58
	s_add_u32 s22, s22, s38
	s_mul_i32 s3, s18, s54
	s_addc_u32 s21, s21, s37
	;; [unrolled: 4-line block ×4, first 2 shown]
	s_add_u32 s3, s3, s20
	s_addc_u32 s2, s2, s19
	s_add_u32 s3, s3, s12
	s_mul_i32 s40, s0, 0x3d10
	s_addc_u32 s2, s2, s13
	s_mul_hi_u32 s39, s0, 0x3d10
	s_add_u32 s3, s3, s40
	s_addc_u32 s2, s2, s39
	s_add_u32 s8, s3, s8
	s_addc_u32 s9, s2, s9
	s_lshr_b64 s[12:13], s[8:9], 26
	s_lshl_b64 s[36:37], s[0:1], 10
	s_mul_i32 s0, s17, s55
	s_mul_hi_u32 s9, s15, s55
	s_add_i32 s9, s9, s0
	s_mul_i32 s0, s25, s49
	s_mul_hi_u32 s22, s25, s48
	s_add_i32 s22, s22, s0
	s_mul_i32 s38, s29, s50
	s_mul_i32 s44, s30, s51
	s_mul_hi_u32 s0, s29, s50
	s_mul_hi_u32 s39, s30, s51
	s_add_u32 s38, s44, s38
	s_mul_i32 s46, s26, s52
	s_addc_u32 s0, s39, s0
	s_mul_hi_u32 s45, s26, s52
	s_add_u32 s38, s38, s46
	s_addc_u32 s0, s0, s45
	s_add_u32 s10, s38, s10
	s_addc_u32 s11, s0, s11
	s_mul_i32 s21, s24, s56
	s_mul_i32 s23, s25, s48
	s_and_b32 s0, s10, 0x3ffffff
	s_lshr_b64 s[38:39], s[10:11], 26
	s_mul_hi_u32 s20, s24, s56
	s_add_u32 s21, s23, s21
	s_mul_i32 s41, s28, s57
	s_addc_u32 s20, s22, s20
	s_mul_hi_u32 s40, s28, s57
	s_add_u32 s21, s21, s41
	s_mul_i32 s43, s27, s58
	s_addc_u32 s20, s20, s40
	s_mul_hi_u32 s42, s27, s58
	s_add_u32 s21, s21, s43
	s_mul_i32 s3, s18, s53
	s_addc_u32 s20, s20, s42
	s_mul_hi_u32 s2, s18, s53
	s_add_u32 s3, s21, s3
	s_mul_i32 s7, s16, s54
	s_addc_u32 s2, s20, s2
	s_mul_hi_u32 s5, s16, s54
	s_add_u32 s3, s3, s7
	s_mul_i32 s19, s15, s55
	s_addc_u32 s2, s2, s5
	s_add_u32 s3, s3, s19
	s_addc_u32 s2, s2, s9
	s_add_u32 s3, s3, s36
	s_mul_i32 s11, s0, 0x3d10
	s_addc_u32 s2, s2, s37
	s_mul_hi_u32 s10, s0, 0x3d10
	s_add_u32 s3, s3, s11
	s_addc_u32 s2, s2, s10
	s_add_u32 s10, s3, s12
	s_addc_u32 s11, s2, s13
	s_lshl_b64 s[36:37], s[0:1], 10
	s_mul_i32 s0, s17, s54
	s_mul_hi_u32 s9, s15, s54
	s_add_i32 s9, s9, s0
	s_mul_i32 s0, s28, s49
	s_mul_hi_u32 s23, s28, s48
	s_lshr_b64 s[12:13], s[10:11], 26
	s_add_i32 s23, s23, s0
	s_mul_i32 s45, s30, s50
	s_mul_i32 s47, s26, s51
	s_mul_hi_u32 s0, s30, s50
	s_mul_hi_u32 s46, s26, s51
	s_add_u32 s45, s47, s45
	s_addc_u32 s0, s46, s0
	s_add_u32 s38, s45, s38
	s_addc_u32 s39, s0, s39
	s_mul_i32 s20, s24, s55
	s_mul_i32 s22, s25, s56
	s_and_b32 s0, s38, 0x3ffffff
	s_lshr_b64 s[38:39], s[38:39], 26
	s_mul_hi_u32 s19, s24, s55
	s_mul_hi_u32 s21, s25, s56
	s_add_u32 s20, s22, s20
	s_mul_i32 s40, s28, s48
	s_addc_u32 s19, s21, s19
	s_add_u32 s20, s20, s40
	s_mul_i32 s42, s27, s57
	s_addc_u32 s19, s19, s23
	s_mul_hi_u32 s41, s27, s57
	s_add_u32 s20, s20, s42
	s_mul_i32 s44, s29, s58
	s_addc_u32 s19, s19, s41
	s_mul_hi_u32 s43, s29, s58
	;; [unrolled: 4-line block ×4, first 2 shown]
	s_add_u32 s3, s3, s7
	s_mul_i32 s11, s15, s54
	s_addc_u32 s2, s2, s5
	s_add_u32 s3, s3, s11
	s_addc_u32 s2, s2, s9
	s_add_u32 s3, s3, s36
	s_mul_i32 s46, s0, 0x3d10
	s_addc_u32 s2, s2, s37
	s_mul_hi_u32 s45, s0, 0x3d10
	s_add_u32 s3, s3, s46
	s_addc_u32 s2, s2, s45
	s_add_u32 s12, s3, s12
	s_addc_u32 s13, s2, s13
	s_lshl_b64 s[40:41], s[0:1], 10
	s_mul_i32 s0, s17, s53
	s_mul_hi_u32 s2, s15, s53
	s_add_i32 s11, s2, s0
	s_mul_i32 s0, s27, s49
	s_mul_hi_u32 s2, s27, s48
	s_lshr_b64 s[36:37], s[12:13], 26
	s_add_i32 s21, s2, s0
	s_mul_hi_u32 s0, s26, s50
	s_mul_i32 s26, s26, s50
	s_add_u32 s2, s38, s26
	s_addc_u32 s3, s39, s0
	s_mul_hi_u32 s7, s16, s52
	s_mul_i32 s9, s16, s52
	s_mul_i32 s13, s15, s53
	s_mul_hi_u32 s15, s24, s54
	s_mul_i32 s24, s24, s54
	s_mul_hi_u32 s19, s25, s55
	s_mul_i32 s25, s25, s55
	s_and_b32 s0, s2, 0x3ffffff
	s_lshr_b64 s[16:17], s[2:3], 26
	s_add_u32 s24, s25, s24
	s_mul_hi_u32 s20, s28, s56
	s_mul_i32 s28, s28, s56
	s_addc_u32 s15, s19, s15
	s_add_u32 s19, s24, s28
	s_mul_i32 s27, s27, s48
	s_addc_u32 s15, s15, s20
	s_add_u32 s19, s19, s27
	s_mul_hi_u32 s22, s29, s57
	s_mul_i32 s29, s29, s57
	s_addc_u32 s15, s15, s21
	s_add_u32 s19, s19, s29
	s_mul_hi_u32 s23, s30, s58
	;; [unrolled: 4-line block ×3, first 2 shown]
	s_mul_i32 s18, s18, s51
	s_addc_u32 s15, s15, s23
	s_add_u32 s18, s19, s18
	s_addc_u32 s5, s15, s5
	s_add_u32 s9, s18, s9
	;; [unrolled: 2-line block ×4, first 2 shown]
	s_mul_i32 s3, s0, 0x3d10
	s_addc_u32 s5, s5, s41
	s_mul_hi_u32 s2, s0, 0x3d10
	s_add_u32 s3, s7, s3
	s_addc_u32 s5, s5, s2
	s_add_u32 s2, s3, s36
	s_addc_u32 s3, s5, s37
	s_lshr_b64 s[18:19], s[2:3], 26
	s_lshl_b64 s[24:25], s[0:1], 10
	s_mul_i32 s3, s16, 0x3d10
	s_mul_hi_u32 s0, s16, 0x3d10
	s_add_u32 s3, s3, s14
	s_addc_u32 s0, s0, 0
	s_add_u32 s3, s3, s24
	s_addc_u32 s0, s0, s25
	;; [unrolled: 2-line block ×3, first 2 shown]
	s_lshr_b64 s[14:15], s[24:25], 22
	s_lshl_b64 s[16:17], s[16:17], 14
	s_add_u32 s14, s14, s16
	s_addc_u32 s15, s15, s17
	s_mul_i32 s0, s15, 0x3d1
	s_mul_hi_u32 s3, s14, 0x3d1
	s_add_i32 s3, s3, s0
	s_mul_i32 s0, s14, 0x3d1
	s_add_u32 s16, s0, s31
	s_addc_u32 s17, s3, 0
	s_lshr_b64 s[18:19], s[16:17], 26
	s_lshl_b64 s[14:15], s[14:15], 6
	s_add_u32 s0, s14, s34
	s_addc_u32 s3, s15, 0
	s_add_u32 s14, s0, s18
	s_addc_u32 s15, s3, s19
	s_lshr_b64 s[18:19], s[14:15], 26
	s_add_u32 s13, s18, s35
	v_readlane_b32 s88, v15, 0
	s_addc_u32 s15, s19, 0
	s_mov_b32 s18, 5
	v_readlane_b32 s90, v15, 2
	v_readlane_b32 s91, v15, 3
	;; [unrolled: 1-line block ×4, first 2 shown]
.LBB0_23:                               ; =>This Inner Loop Header: Depth=1
	s_lshl_b32 s21, s14, 1
	s_lshl_b32 s25, s4, 1
	s_lshl_b32 s20, s6, 1
	s_lshl_b32 s19, s16, 1
	s_and_b32 s11, s10, 0x3ffffff
	s_and_b32 s0, s8, 0x3ffffff
	;; [unrolled: 1-line block ×7, first 2 shown]
	s_lshl_b32 s7, s13, 1
	s_and_b32 s5, s12, 0x3ffffff
	s_and_b32 s28, s19, 0x7fffffe
	s_mul_i32 s54, s11, s25
	s_mul_i32 s62, s21, s0
	s_mul_hi_u32 s45, s11, s25
	s_mul_hi_u32 s61, s21, s0
	s_add_u32 s54, s54, s62
	s_mul_i32 s46, s5, s7
	s_addc_u32 s61, s45, s61
	s_mul_hi_u32 s48, s5, s7
	s_add_u32 s54, s54, s46
	s_mul_i32 s49, s9, s26
	s_addc_u32 s61, s61, s48
	s_mul_hi_u32 s23, s9, s26
	s_add_u32 s62, s54, s49
	s_mul_hi_u32 s53, s0, s0
	s_mul_i32 s19, s0, s0
	s_mul_hi_u32 s37, s0, s7
	s_mul_i32 s38, s0, s7
	s_mul_i32 s22, s3, s28
	s_mul_hi_u32 s59, s0, s28
	s_mul_i32 s60, s0, s28
	s_mul_hi_u32 s57, s0, s26
	;; [unrolled: 2-line block ×3, first 2 shown]
	s_mul_i32 s54, s0, s25
	s_addc_u32 s0, s61, s23
	s_mul_hi_u32 s20, s3, s28
	s_add_u32 s62, s62, s22
	s_addc_u32 s63, s0, s20
	s_mul_i32 s69, s11, s21
	s_and_b32 s0, s16, 0x3ffffff
	s_and_b32 s16, s62, 0x3fffffe
	s_lshr_b64 s[62:63], s[62:63], 26
	s_mul_hi_u32 s68, s11, s21
	s_mul_hi_u32 s20, s0, s0
	s_mul_i32 s22, s0, s0
	s_add_u32 s0, s69, s19
	s_mul_i32 s67, s5, s25
	s_addc_u32 s19, s68, s53
	s_mul_hi_u32 s66, s5, s25
	s_add_u32 s0, s0, s67
	s_mul_i32 s50, s9, s7
	s_addc_u32 s19, s19, s66
	s_mul_hi_u32 s47, s9, s7
	;; [unrolled: 4-line block ×3, first 2 shown]
	s_add_u32 s0, s0, s65
	s_addc_u32 s19, s19, s64
	s_add_u32 s62, s0, s62
	s_addc_u32 s63, s19, s63
	s_and_b32 s0, s62, 0x3ffffff
	s_lshr_b64 s[62:63], s[62:63], 26
	s_mul_i32 s23, s0, 0x3d10
	s_mul_hi_u32 s19, s0, 0x3d10
	s_add_u32 s64, s23, s22
	s_addc_u32 s65, s19, s20
	s_lshl_b32 s8, s8, 1
	s_lshl_b64 s[66:67], s[0:1], 10
	s_and_b32 s0, s14, 0x3ffffff
	s_and_b32 s8, s8, 0x7fffffe
	s_mul_hi_u32 s41, s11, s11
	s_mul_i32 s42, s11, s11
	s_mul_hi_u32 s31, s11, s7
	s_mul_i32 s34, s11, s7
	;; [unrolled: 2-line block ×7, first 2 shown]
	s_and_b32 s47, s64, 0x3fffffd
	s_lshr_b64 s[64:65], s[64:65], 26
	s_mul_hi_u32 s14, s28, s0
	s_mul_i32 s19, s28, s0
	s_mul_hi_u32 s20, s0, s0
	s_mul_i32 s22, s0, s0
	;; [unrolled: 2-line block ×3, first 2 shown]
	s_add_u32 s11, s73, s11
	s_mul_i32 s71, s9, s25
	s_addc_u32 s0, s72, s0
	s_mul_hi_u32 s70, s9, s25
	s_add_u32 s11, s11, s71
	s_mul_i32 s44, s3, s7
	s_addc_u32 s0, s0, s70
	s_mul_hi_u32 s43, s3, s7
	s_add_u32 s11, s11, s44
	s_addc_u32 s0, s0, s43
	s_add_u32 s62, s11, s62
	s_addc_u32 s63, s0, s63
	s_and_b32 s0, s62, 0x3ffffff
	s_lshr_b64 s[62:63], s[62:63], 26
	s_add_u32 s19, s66, s19
	s_addc_u32 s14, s67, s14
	s_add_u32 s19, s19, s64
	s_mul_i32 s43, s0, 0x3d10
	s_addc_u32 s14, s14, s65
	s_mul_hi_u32 s11, s0, 0x3d10
	s_add_u32 s64, s19, s43
	s_mul_i32 s74, s28, s15
	s_mul_hi_u32 s75, s28, s13
	s_addc_u32 s65, s14, s11
	s_mul_i32 s50, s5, s8
	s_and_b32 s14, s64, 0x3ffffff
	s_lshl_b64 s[66:67], s[0:1], 10
	s_add_i32 s75, s75, s74
	s_lshr_b64 s[64:65], s[64:65], 26
	s_mul_hi_u32 s23, s5, s8
	s_add_u32 s0, s50, s42
	s_addc_u32 s11, s23, s41
	s_add_u32 s0, s0, s80
	s_mul_i32 s78, s3, s25
	s_addc_u32 s11, s11, s79
	s_mul_hi_u32 s77, s3, s25
	s_add_u32 s0, s0, s78
	s_addc_u32 s11, s11, s77
	s_add_u32 s42, s0, s62
	s_addc_u32 s43, s11, s63
	s_mul_i32 s76, s28, s13
	s_and_b32 s0, s42, 0x3ffffff
	s_lshr_b64 s[42:43], s[42:43], 26
	s_add_u32 s22, s76, s22
	s_addc_u32 s20, s75, s20
	s_add_u32 s22, s22, s66
	s_mul_i32 s19, s0, 0x3d10
	s_addc_u32 s20, s20, s67
	s_mul_hi_u32 s11, s0, 0x3d10
	s_add_u32 s19, s22, s19
	s_addc_u32 s11, s20, s11
	s_add_u32 s62, s19, s64
	s_addc_u32 s63, s11, s65
	s_lshl_b64 s[64:65], s[0:1], 10
	s_and_b32 s0, s4, 0x3ffffff
	s_lshl_b32 s4, s10, 1
	s_mul_i32 s81, s26, s15
	s_mul_hi_u32 s82, s26, s13
	s_and_b32 s4, s4, 0x7fffffe
	s_mul_i32 s24, s13, s15
	s_mul_hi_u32 s27, s13, s13
	s_mul_i32 s17, s13, s13
	s_mul_hi_u32 s29, s5, s5
	s_mul_i32 s30, s5, s5
	s_mul_i32 s83, s26, s13
	s_mul_hi_u32 s13, s5, s28
	s_mul_i32 s51, s5, s28
	s_mul_hi_u32 s46, s5, s26
	s_mul_i32 s48, s5, s26
	s_mul_i32 s61, s9, s8
	s_and_b32 s19, s62, 0x3ffffff
	s_add_i32 s82, s82, s81
	s_lshr_b64 s[10:11], s[62:63], 26
	s_mul_hi_u32 s20, s0, s28
	s_mul_i32 s22, s0, s28
	s_mul_hi_u32 s23, s0, s26
	s_mul_i32 s41, s0, s26
	;; [unrolled: 2-line block ×5, first 2 shown]
	s_mul_hi_u32 s53, s9, s8
	s_mul_hi_u32 s69, s9, s4
	s_mul_i32 s70, s9, s4
	s_mul_hi_u32 s71, s3, s4
	s_mul_i32 s72, s3, s4
	s_add_u32 s4, s61, s5
	s_addc_u32 s0, s53, s0
	s_add_u32 s4, s4, s85
	s_addc_u32 s0, s0, s84
	;; [unrolled: 2-line block ×3, first 2 shown]
	s_and_b32 s0, s4, 0x3ffffff
	s_lshr_b64 s[42:43], s[4:5], 26
	s_add_u32 s22, s22, s83
	s_addc_u32 s20, s20, s82
	s_add_u32 s22, s22, s64
	s_mul_i32 s5, s0, 0x3d10
	s_addc_u32 s20, s20, s65
	s_mul_hi_u32 s4, s0, 0x3d10
	s_add_u32 s5, s22, s5
	s_addc_u32 s20, s20, s4
	s_add_u32 s4, s5, s10
	s_addc_u32 s5, s20, s11
	s_lshl_b64 s[10:11], s[0:1], 10
	s_and_b32 s0, s6, 0x3ffffff
	s_add_i32 s6, s27, s24
	s_lshr_b64 s[62:63], s[4:5], 26
	s_add_i32 s22, s6, s24
	s_mul_hi_u32 s15, s9, s28
	s_mul_i32 s45, s9, s28
	s_mul_hi_u32 s5, s0, s28
	s_mul_i32 s20, s0, s28
	;; [unrolled: 2-line block ×6, first 2 shown]
	s_add_u32 s0, s70, s30
	s_mul_hi_u32 s68, s3, s8
	s_mul_i32 s8, s3, s8
	s_addc_u32 s6, s69, s29
	s_add_u32 s0, s0, s8
	s_addc_u32 s7, s6, s68
	s_add_u32 s6, s0, s42
	s_addc_u32 s7, s7, s43
	s_and_b32 s0, s6, 0x3ffffff
	s_lshr_b64 s[24:25], s[6:7], 26
	s_add_u32 s8, s41, s17
	s_addc_u32 s17, s23, s22
	s_add_u32 s8, s8, s20
	s_addc_u32 s5, s17, s5
	s_add_u32 s8, s8, s10
	s_mul_i32 s7, s0, 0x3d10
	s_addc_u32 s5, s5, s11
	s_mul_hi_u32 s6, s0, 0x3d10
	s_add_u32 s7, s8, s7
	s_addc_u32 s5, s5, s6
	s_add_u32 s6, s7, s62
	s_addc_u32 s7, s5, s63
	s_lshl_b64 s[10:11], s[0:1], 10
	s_lshl_b32 s0, s12, 1
	s_and_b32 s0, s0, 0x7fffffe
	s_lshr_b64 s[26:27], s[6:7], 26
	s_mul_i32 s7, s0, s9
	s_mul_hi_u32 s5, s0, s9
	s_mul_hi_u32 s12, s3, s0
	s_mul_i32 s17, s3, s0
	s_add_u32 s0, s72, s7
	s_addc_u32 s5, s71, s5
	s_add_u32 s8, s0, s24
	s_mul_hi_u32 s35, s9, s9
	s_mul_i32 s36, s9, s9
	s_addc_u32 s9, s5, s25
	s_and_b32 s0, s8, 0x3ffffff
	s_lshr_b64 s[24:25], s[8:9], 26
	s_add_u32 s8, s53, s50
	s_addc_u32 s9, s28, s44
	s_add_u32 s8, s8, s60
	s_addc_u32 s9, s9, s59
	s_add_u32 s8, s8, s10
	s_mul_i32 s7, s0, 0x3d10
	s_addc_u32 s9, s9, s11
	s_mul_hi_u32 s5, s0, 0x3d10
	s_add_u32 s7, s8, s7
	s_addc_u32 s5, s9, s5
	s_add_u32 s8, s7, s26
	s_addc_u32 s9, s5, s27
	s_lshl_b64 s[10:11], s[0:1], 10
	s_lshr_b64 s[26:27], s[8:9], 26
	s_add_u32 s0, s17, s36
	s_addc_u32 s5, s12, s35
	s_add_u32 s24, s0, s24
	s_addc_u32 s25, s5, s25
	s_and_b32 s0, s24, 0x3ffffff
	s_lshr_b64 s[24:25], s[24:25], 26
	s_add_u32 s9, s64, s67
	s_addc_u32 s12, s61, s66
	s_add_u32 s9, s9, s58
	s_addc_u32 s12, s12, s57
	;; [unrolled: 2-line block ×3, first 2 shown]
	s_add_u32 s9, s9, s10
	s_mul_i32 s7, s0, 0x3d10
	s_addc_u32 s10, s12, s11
	s_mul_hi_u32 s5, s0, 0x3d10
	s_add_u32 s7, s9, s7
	s_addc_u32 s5, s10, s5
	s_add_u32 s10, s7, s26
	s_addc_u32 s11, s5, s27
	s_lshl_b64 s[26:27], s[0:1], 10
	s_lshl_b32 s0, s2, 1
	s_and_b32 s0, s0, 0x7fffffe
	s_lshr_b64 s[28:29], s[10:11], 26
	s_mul_hi_u32 s5, s0, s3
	s_mul_i32 s0, s0, s3
	s_add_u32 s2, s24, s0
	s_mul_hi_u32 s39, s3, s3
	s_mul_i32 s40, s3, s3
	s_addc_u32 s3, s25, s5
	s_and_b32 s0, s2, 0x3ffffff
	s_lshr_b64 s[2:3], s[2:3], 26
	s_add_u32 s9, s38, s73
	s_addc_u32 s11, s37, s65
	s_add_u32 s9, s9, s55
	s_addc_u32 s11, s11, s21
	;; [unrolled: 2-line block ×3, first 2 shown]
	s_add_u32 s9, s9, s26
	s_mul_i32 s7, s0, 0x3d10
	s_addc_u32 s11, s11, s27
	s_mul_hi_u32 s5, s0, 0x3d10
	s_add_u32 s7, s9, s7
	s_addc_u32 s5, s11, s5
	s_add_u32 s12, s7, s28
	s_addc_u32 s13, s5, s29
	s_lshl_b64 s[24:25], s[0:1], 10
	s_lshr_b64 s[26:27], s[12:13], 26
	s_add_u32 s2, s2, s40
	s_addc_u32 s3, s3, s39
	s_and_b32 s0, s2, 0x3ffffff
	s_lshr_b64 s[28:29], s[2:3], 26
	s_add_u32 s5, s54, s75
	s_addc_u32 s11, s49, s74
	s_add_u32 s5, s5, s34
	s_addc_u32 s11, s11, s31
	;; [unrolled: 2-line block ×4, first 2 shown]
	s_add_u32 s5, s5, s24
	s_mul_i32 s3, s0, 0x3d10
	s_addc_u32 s11, s11, s25
	s_mul_hi_u32 s2, s0, 0x3d10
	s_add_u32 s3, s5, s3
	s_addc_u32 s5, s11, s2
	s_add_u32 s2, s3, s26
	s_addc_u32 s3, s5, s27
	s_mul_i32 s9, s28, 0x3d10
	s_lshl_b64 s[24:25], s[0:1], 10
	s_lshr_b64 s[26:27], s[2:3], 26
	s_mul_hi_u32 s7, s28, 0x3d10
	s_add_u32 s0, s9, s16
	s_addc_u32 s3, s7, 0
	s_add_u32 s0, s0, s24
	s_addc_u32 s3, s3, s25
	;; [unrolled: 2-line block ×3, first 2 shown]
	s_lshl_b64 s[16:17], s[28:29], 14
	s_lshr_b64 s[26:27], s[24:25], 22
	s_add_u32 s26, s26, s16
	s_addc_u32 s27, s27, s17
	s_mul_hi_u32 s0, s26, 0x3d1
	s_mul_i32 s5, s27, 0x3d1
	s_mul_i32 s3, s26, 0x3d1
	s_add_i32 s0, s0, s5
	s_add_u32 s16, s3, s47
	s_addc_u32 s17, s0, 0
	s_lshl_b64 s[26:27], s[26:27], 6
	s_lshr_b64 s[28:29], s[16:17], 26
	s_add_u32 s0, s26, s14
	s_addc_u32 s3, s27, 0
	s_add_u32 s14, s0, s28
	s_addc_u32 s15, s3, s29
	s_lshr_b64 s[26:27], s[14:15], 26
	s_add_u32 s13, s26, s19
	s_addc_u32 s15, s27, 0
	s_add_i32 s18, s18, -1
	s_cmp_lg_u32 s18, 0
	s_cbranch_scc1 .LBB0_23
; %bb.24:
	v_readlane_b32 s52, v15, 18
	s_and_b32 s12, s12, 0x3ffffff
	s_mul_i32 s7, s15, s52
	s_mul_hi_u32 s9, s13, s52
	s_and_b32 s18, s4, 0x3ffffff
	v_readlane_b32 s51, v15, 19
	s_and_b32 s25, s6, 0x3ffffff
	v_readlane_b32 s50, v15, 20
	s_mul_i32 s21, s12, s93
	s_mul_hi_u32 s22, s12, s92
	s_and_b32 s16, s16, 0x3ffffff
	s_and_b32 s17, s14, 0x3ffffff
	s_add_i32 s9, s9, s7
	s_mul_i32 s11, s18, s51
	s_mul_i32 s14, s25, s50
	s_and_b32 s27, s8, 0x3ffffff
	s_and_b32 s26, s10, 0x3ffffff
	s_add_i32 s22, s22, s21
	s_and_b32 s28, s2, 0x3ffffff
	s_and_b32 s24, s24, 0x3fffff
	s_mul_hi_u32 s4, s18, s51
	s_mul_hi_u32 s6, s25, s50
	v_readlane_b32 s49, v15, 21
	s_add_u32 s11, s14, s11
	s_mul_i32 s19, s27, s49
	s_addc_u32 s4, s6, s4
	s_mul_hi_u32 s8, s27, s49
	v_readlane_b32 s48, v15, 22
	s_add_u32 s6, s11, s19
	s_mul_i32 s20, s26, s48
	s_addc_u32 s4, s4, s8
	v_readlane_b32 s88, v15, 16
	s_mul_hi_u32 s10, s26, s48
	s_add_u32 s6, s6, s20
	v_readlane_b32 s89, v15, 17
	s_mul_i32 s21, s12, s92
	s_addc_u32 s4, s4, s10
	v_readlane_b32 s89, v15, 25
	s_add_u32 s6, s6, s21
	s_mul_i32 s23, s28, s89
	s_addc_u32 s4, s4, s22
	s_mul_hi_u32 s2, s28, s89
	s_add_u32 s6, s6, s23
	s_mul_i32 s30, s24, s87
	s_addc_u32 s2, s4, s2
	s_mul_hi_u32 s29, s24, s87
	;; [unrolled: 4-line block ×4, first 2 shown]
	s_add_u32 s1, s1, s5
	s_mul_i32 s7, s13, s52
	s_addc_u32 s0, s0, s3
	s_add_u32 s2, s1, s7
	s_addc_u32 s3, s0, s9
	s_mul_i32 s7, s15, s33
	s_mul_hi_u32 s8, s13, s33
	s_mul_i32 s31, s28, s93
	s_mul_hi_u32 s34, s28, s92
	s_and_b32 s14, s2, 0x3ffffff
	s_lshr_b64 s[2:3], s[2:3], 26
	s_add_i32 s8, s8, s7
	s_mul_i32 s10, s18, s52
	s_mul_i32 s19, s25, s51
	s_add_i32 s34, s34, s31
	s_mul_hi_u32 s9, s18, s52
	s_mul_hi_u32 s11, s25, s51
	s_add_u32 s10, s19, s10
	s_mul_i32 s21, s27, s50
	s_addc_u32 s9, s11, s9
	s_mul_hi_u32 s20, s27, s50
	s_add_u32 s10, s10, s21
	s_mul_i32 s23, s26, s49
	s_addc_u32 s9, s9, s20
	;; [unrolled: 4-line block ×4, first 2 shown]
	s_add_u32 s10, s10, s31
	s_mul_i32 s36, s24, s89
	s_addc_u32 s9, s9, s34
	s_mul_hi_u32 s35, s24, s89
	s_add_u32 s10, s10, s36
	s_mul_i32 s6, s17, s88
	s_addc_u32 s9, s9, s35
	s_mul_hi_u32 s0, s17, s88
	s_add_u32 s6, s10, s6
	s_mul_i32 s7, s13, s33
	s_addc_u32 s0, s9, s0
	s_add_u32 s6, s6, s7
	s_addc_u32 s0, s0, s8
	s_add_u32 s2, s6, s2
	s_addc_u32 s3, s0, s3
	s_and_b32 s0, s2, 0x3ffffff
	s_mul_i32 s4, s16, s87
	s_lshr_b64 s[2:3], s[2:3], 26
	s_mul_i32 s7, s0, 0x3d10
	s_mov_b32 s1, 0
	s_mul_hi_u32 s5, s16, s87
	s_mul_hi_u32 s6, s0, 0x3d10
	s_add_u32 s4, s7, s4
	s_addc_u32 s5, s6, s5
	s_lshl_b64 s[6:7], s[0:1], 10
	s_mul_i32 s0, s15, s88
	s_mul_hi_u32 s19, s13, s88
	s_mul_i32 s40, s24, s93
	s_mul_hi_u32 s41, s24, s92
	s_and_b32 s29, s4, 0x3ffffff
	s_lshr_b64 s[4:5], s[4:5], 26
	s_add_i32 s19, s19, s0
	s_mul_i32 s21, s18, s33
	s_mul_i32 s23, s25, s52
	s_add_i32 s41, s41, s40
	s_mul_hi_u32 s20, s18, s33
	s_mul_hi_u32 s22, s25, s52
	s_add_u32 s21, s23, s21
	s_mul_i32 s31, s27, s51
	s_addc_u32 s20, s22, s20
	s_mul_hi_u32 s30, s27, s51
	s_add_u32 s21, s21, s31
	s_mul_i32 s35, s26, s50
	s_addc_u32 s20, s20, s30
	;; [unrolled: 4-line block ×5, first 2 shown]
	s_add_u32 s21, s21, s40
	s_mul_i32 s0, s13, s88
	s_addc_u32 s20, s20, s41
	s_add_u32 s0, s21, s0
	s_addc_u32 s19, s20, s19
	s_add_u32 s2, s0, s2
	s_addc_u32 s3, s19, s3
	s_mul_i32 s9, s16, s89
	s_mul_i32 s11, s17, s87
	s_and_b32 s0, s2, 0x3ffffff
	s_lshr_b64 s[2:3], s[2:3], 26
	s_mul_hi_u32 s8, s16, s89
	s_mul_hi_u32 s10, s17, s87
	s_add_u32 s9, s11, s9
	s_addc_u32 s8, s10, s8
	s_add_u32 s6, s9, s6
	s_addc_u32 s7, s8, s7
	s_add_u32 s4, s6, s4
	s_mul_i32 s20, s0, 0x3d10
	s_addc_u32 s5, s7, s5
	s_mul_hi_u32 s19, s0, 0x3d10
	s_add_u32 s4, s4, s20
	s_addc_u32 s5, s5, s19
	s_lshl_b64 s[6:7], s[0:1], 10
	s_mul_i32 s0, s16, s93
	s_mul_hi_u32 s8, s16, s92
	s_add_i32 s8, s8, s0
	s_mul_i32 s0, s15, s87
	s_mul_hi_u32 s19, s13, s87
	s_and_b32 s30, s4, 0x3ffffff
	s_lshr_b64 s[4:5], s[4:5], 26
	s_add_i32 s19, s19, s0
	s_mul_i32 s21, s18, s88
	s_mul_i32 s23, s25, s33
	s_mul_hi_u32 s0, s18, s88
	s_mul_hi_u32 s22, s25, s33
	s_add_u32 s21, s23, s21
	s_mul_i32 s34, s27, s52
	s_addc_u32 s0, s22, s0
	s_mul_hi_u32 s31, s27, s52
	s_add_u32 s21, s21, s34
	s_mul_i32 s36, s26, s51
	s_addc_u32 s0, s0, s31
	;; [unrolled: 4-line block ×5, first 2 shown]
	s_mul_hi_u32 s41, s24, s48
	s_add_u32 s21, s21, s42
	s_addc_u32 s0, s0, s41
	s_add_u32 s2, s21, s2
	s_addc_u32 s3, s0, s3
	s_mul_i32 s9, s16, s92
	s_mul_i32 s11, s17, s89
	s_and_b32 s0, s2, 0x3ffffff
	s_lshr_b64 s[2:3], s[2:3], 26
	s_mul_hi_u32 s10, s17, s89
	s_add_u32 s9, s11, s9
	s_mul_i32 s20, s13, s87
	s_addc_u32 s8, s10, s8
	s_add_u32 s9, s9, s20
	s_addc_u32 s8, s8, s19
	s_add_u32 s6, s9, s6
	s_mul_i32 s22, s0, 0x3d10
	s_addc_u32 s7, s8, s7
	s_mul_hi_u32 s21, s0, 0x3d10
	s_add_u32 s6, s6, s22
	s_addc_u32 s7, s7, s21
	s_add_u32 s4, s6, s4
	s_addc_u32 s5, s7, s5
	s_lshl_b64 s[6:7], s[0:1], 10
	s_mul_i32 s0, s17, s93
	s_mul_hi_u32 s8, s17, s92
	s_add_i32 s19, s8, s0
	s_mul_i32 s0, s15, s89
	s_mul_hi_u32 s8, s13, s89
	s_and_b32 s31, s4, 0x3ffffff
	s_lshr_b64 s[4:5], s[4:5], 26
	s_add_i32 s21, s8, s0
	s_mul_i32 s8, s25, s88
	s_mul_i32 s35, s27, s33
	s_mul_hi_u32 s0, s25, s88
	s_mul_hi_u32 s9, s27, s33
	s_add_u32 s8, s35, s8
	s_mul_i32 s37, s26, s52
	s_addc_u32 s0, s9, s0
	s_mul_hi_u32 s36, s26, s52
	s_add_u32 s8, s8, s37
	s_mul_i32 s39, s12, s51
	s_addc_u32 s0, s0, s36
	;; [unrolled: 4-line block ×4, first 2 shown]
	s_mul_hi_u32 s42, s24, s49
	s_add_u32 s8, s8, s43
	s_addc_u32 s0, s0, s42
	s_add_u32 s2, s8, s2
	s_addc_u32 s3, s0, s3
	s_mul_i32 s11, s16, s48
	s_mul_i32 s34, s18, s87
	s_and_b32 s0, s2, 0x3ffffff
	s_lshr_b64 s[8:9], s[2:3], 26
	s_mul_hi_u32 s10, s16, s48
	s_mul_hi_u32 s23, s18, s87
	s_add_u32 s11, s11, s34
	s_mul_i32 s20, s17, s92
	s_addc_u32 s10, s10, s23
	s_add_u32 s11, s11, s20
	s_mul_i32 s22, s13, s89
	s_addc_u32 s10, s10, s19
	s_add_u32 s11, s11, s22
	s_addc_u32 s10, s10, s21
	s_add_u32 s6, s11, s6
	s_mul_i32 s3, s0, 0x3d10
	s_addc_u32 s7, s10, s7
	s_mul_hi_u32 s2, s0, 0x3d10
	s_add_u32 s3, s6, s3
	s_addc_u32 s6, s7, s2
	s_add_u32 s2, s3, s4
	s_addc_u32 s3, s6, s5
	s_lshl_b64 s[6:7], s[0:1], 10
	s_mul_i32 s0, s13, s93
	s_mul_hi_u32 s20, s13, s92
	s_add_i32 s0, s20, s0
	s_mul_i32 s20, s15, s92
	s_lshr_b64 s[4:5], s[2:3], 26
	s_add_i32 s20, s0, s20
	s_mul_i32 s36, s27, s88
	s_mul_i32 s38, s26, s33
	s_mul_hi_u32 s0, s27, s88
	s_mul_hi_u32 s37, s26, s33
	s_add_u32 s36, s38, s36
	s_mul_i32 s40, s12, s52
	s_addc_u32 s0, s37, s0
	s_mul_hi_u32 s39, s12, s52
	s_add_u32 s36, s36, s40
	s_mul_i32 s42, s28, s51
	s_addc_u32 s0, s0, s39
	;; [unrolled: 4-line block ×3, first 2 shown]
	s_mul_hi_u32 s43, s24, s50
	s_add_u32 s36, s36, s44
	s_addc_u32 s0, s0, s43
	s_add_u32 s8, s36, s8
	s_addc_u32 s9, s0, s9
	s_mul_i32 s23, s18, s89
	s_mul_i32 s35, s25, s87
	s_and_b32 s0, s8, 0x3ffffff
	s_lshr_b64 s[8:9], s[8:9], 26
	s_mul_hi_u32 s22, s18, s89
	s_mul_hi_u32 s34, s25, s87
	s_add_u32 s23, s35, s23
	s_mul_i32 s10, s16, s49
	s_addc_u32 s22, s34, s22
	s_mul_hi_u32 s3, s16, s49
	s_add_u32 s10, s23, s10
	s_mul_i32 s19, s17, s48
	s_addc_u32 s3, s22, s3
	;; [unrolled: 4-line block ×3, first 2 shown]
	s_add_u32 s10, s10, s21
	s_addc_u32 s3, s3, s20
	s_add_u32 s6, s10, s6
	s_mul_i32 s37, s0, 0x3d10
	s_addc_u32 s3, s3, s7
	s_mul_hi_u32 s36, s0, 0x3d10
	s_add_u32 s6, s6, s37
	s_addc_u32 s3, s3, s36
	s_add_u32 s4, s6, s4
	s_addc_u32 s5, s3, s5
	s_lshl_b64 s[10:11], s[0:1], 10
	s_mul_i32 s0, s15, s48
	s_mul_hi_u32 s21, s13, s48
	s_add_i32 s21, s21, s0
	s_mul_i32 s0, s18, s93
	s_mul_hi_u32 s23, s18, s92
	s_lshr_b64 s[6:7], s[4:5], 26
	s_add_i32 s23, s23, s0
	s_mul_i32 s39, s26, s88
	s_mul_i32 s41, s12, s33
	s_mul_hi_u32 s0, s26, s88
	s_mul_hi_u32 s40, s12, s33
	s_add_u32 s39, s41, s39
	s_mul_i32 s43, s28, s52
	s_addc_u32 s0, s40, s0
	s_mul_hi_u32 s42, s28, s52
	s_add_u32 s39, s39, s43
	s_mul_i32 s45, s24, s51
	s_addc_u32 s0, s0, s42
	s_mul_hi_u32 s44, s24, s51
	s_add_u32 s39, s39, s45
	s_addc_u32 s0, s0, s44
	s_add_u32 s8, s39, s8
	s_addc_u32 s9, s0, s9
	s_mul_i32 s34, s18, s92
	s_mul_i32 s36, s25, s89
	s_and_b32 s0, s8, 0x3ffffff
	s_lshr_b64 s[8:9], s[8:9], 26
	s_mul_hi_u32 s35, s25, s89
	s_add_u32 s34, s36, s34
	s_mul_i32 s38, s27, s87
	s_addc_u32 s23, s35, s23
	s_mul_hi_u32 s37, s27, s87
	s_add_u32 s34, s34, s38
	s_mul_i32 s5, s16, s50
	s_addc_u32 s23, s23, s37
	;; [unrolled: 4-line block ×4, first 2 shown]
	s_add_u32 s5, s5, s22
	s_addc_u32 s3, s3, s21
	s_add_u32 s5, s5, s10
	s_mul_i32 s40, s0, 0x3d10
	s_addc_u32 s3, s3, s11
	s_mul_hi_u32 s39, s0, 0x3d10
	s_add_u32 s5, s5, s40
	s_addc_u32 s3, s3, s39
	s_add_u32 s6, s5, s6
	s_addc_u32 s7, s3, s7
	s_lshl_b64 s[34:35], s[0:1], 10
	s_mul_i32 s0, s15, s49
	s_mul_hi_u32 s20, s13, s49
	s_add_i32 s20, s20, s0
	s_mul_i32 s0, s25, s93
	s_mul_hi_u32 s36, s25, s92
	s_lshr_b64 s[10:11], s[6:7], 26
	s_add_i32 s38, s36, s0
	s_mul_i32 s36, s12, s88
	s_mul_i32 s44, s28, s33
	s_mul_hi_u32 s0, s12, s88
	s_mul_hi_u32 s37, s28, s33
	s_add_u32 s36, s44, s36
	s_mul_i32 s46, s24, s52
	s_addc_u32 s0, s37, s0
	s_mul_hi_u32 s45, s24, s52
	s_add_u32 s36, s36, s46
	s_addc_u32 s0, s0, s45
	s_add_u32 s8, s36, s8
	s_addc_u32 s9, s0, s9
	s_mul_i32 s23, s18, s48
	s_mul_i32 s39, s25, s92
	s_and_b32 s0, s8, 0x3ffffff
	s_lshr_b64 s[36:37], s[8:9], 26
	s_mul_hi_u32 s22, s18, s48
	s_add_u32 s23, s39, s23
	s_mul_i32 s41, s27, s89
	s_addc_u32 s22, s38, s22
	s_mul_hi_u32 s40, s27, s89
	s_add_u32 s23, s23, s41
	s_mul_i32 s43, s26, s87
	s_addc_u32 s22, s22, s40
	;; [unrolled: 4-line block ×5, first 2 shown]
	s_add_u32 s5, s5, s21
	s_addc_u32 s3, s3, s20
	s_add_u32 s5, s5, s34
	s_mul_i32 s9, s0, 0x3d10
	s_addc_u32 s3, s3, s35
	s_mul_hi_u32 s8, s0, 0x3d10
	s_add_u32 s5, s5, s9
	s_addc_u32 s3, s3, s8
	s_add_u32 s8, s5, s10
	s_addc_u32 s9, s3, s11
	s_lshl_b64 s[34:35], s[0:1], 10
	s_mul_i32 s0, s15, s50
	s_mul_hi_u32 s19, s13, s50
	s_add_i32 s19, s19, s0
	s_mul_i32 s0, s27, s93
	s_mul_hi_u32 s39, s27, s92
	s_lshr_b64 s[10:11], s[8:9], 26
	s_add_i32 s39, s39, s0
	s_mul_i32 s45, s28, s88
	s_mul_i32 s47, s24, s33
	s_mul_hi_u32 s0, s28, s88
	s_mul_hi_u32 s46, s24, s33
	s_add_u32 s45, s47, s45
	s_addc_u32 s0, s46, s0
	s_add_u32 s36, s45, s36
	s_addc_u32 s37, s0, s37
	s_mul_i32 s22, s18, s49
	s_mul_i32 s38, s25, s48
	s_and_b32 s0, s36, 0x3ffffff
	s_lshr_b64 s[36:37], s[36:37], 26
	s_mul_hi_u32 s21, s18, s49
	s_mul_hi_u32 s23, s25, s48
	s_add_u32 s22, s38, s22
	s_mul_i32 s40, s27, s92
	s_addc_u32 s21, s23, s21
	s_add_u32 s22, s22, s40
	s_mul_i32 s42, s26, s89
	s_addc_u32 s21, s21, s39
	s_mul_hi_u32 s41, s26, s89
	s_add_u32 s22, s22, s42
	s_mul_i32 s44, s12, s87
	s_addc_u32 s21, s21, s41
	s_mul_hi_u32 s43, s12, s87
	;; [unrolled: 4-line block ×4, first 2 shown]
	s_add_u32 s5, s5, s9
	s_mul_i32 s20, s13, s50
	s_addc_u32 s3, s3, s7
	s_add_u32 s5, s5, s20
	s_addc_u32 s3, s3, s19
	s_add_u32 s5, s5, s34
	s_mul_i32 s46, s0, 0x3d10
	s_addc_u32 s3, s3, s35
	s_mul_hi_u32 s45, s0, 0x3d10
	s_add_u32 s5, s5, s46
	s_addc_u32 s3, s3, s45
	s_add_u32 s10, s5, s10
	s_addc_u32 s11, s3, s11
	s_lshr_b64 s[34:35], s[10:11], 26
	s_lshl_b64 s[38:39], s[0:1], 10
	s_mul_i32 s0, s15, s51
	s_mul_hi_u32 s11, s13, s51
	s_add_i32 s11, s11, s0
	s_mul_i32 s15, s13, s51
	s_mul_i32 s0, s26, s93
	s_mul_hi_u32 s13, s26, s92
	s_add_i32 s22, s13, s0
	s_mul_hi_u32 s0, s24, s88
	s_mul_i32 s24, s24, s88
	s_mul_hi_u32 s23, s12, s89
	s_mul_i32 s40, s12, s89
	s_add_u32 s12, s36, s24
	s_addc_u32 s13, s37, s0
	s_mul_hi_u32 s3, s16, s33
	s_mul_i32 s5, s16, s33
	s_mul_hi_u32 s7, s17, s52
	s_mul_i32 s9, s17, s52
	s_mul_hi_u32 s19, s18, s50
	s_mul_i32 s18, s18, s50
	s_mul_hi_u32 s20, s25, s49
	s_mul_i32 s25, s25, s49
	s_and_b32 s0, s12, 0x3ffffff
	s_lshr_b64 s[16:17], s[12:13], 26
	s_add_u32 s18, s25, s18
	s_mul_hi_u32 s21, s27, s48
	s_mul_i32 s27, s27, s48
	s_addc_u32 s19, s20, s19
	s_add_u32 s18, s18, s27
	s_mul_i32 s26, s26, s92
	s_addc_u32 s19, s19, s21
	s_add_u32 s18, s18, s26
	s_addc_u32 s19, s19, s22
	s_add_u32 s18, s18, s40
	s_mul_hi_u32 s41, s28, s87
	s_mul_i32 s28, s28, s87
	s_addc_u32 s19, s19, s23
	s_add_u32 s18, s18, s28
	s_addc_u32 s19, s19, s41
	s_add_u32 s5, s18, s5
	;; [unrolled: 2-line block ×5, first 2 shown]
	s_mul_i32 s13, s0, 0x3d10
	s_addc_u32 s3, s3, s39
	s_mul_hi_u32 s12, s0, 0x3d10
	s_add_u32 s5, s5, s13
	s_addc_u32 s3, s3, s12
	s_add_u32 s12, s5, s34
	s_addc_u32 s13, s3, s35
	s_lshr_b64 s[18:19], s[12:13], 26
	s_lshl_b64 s[24:25], s[0:1], 10
	s_mul_i32 s3, s16, 0x3d10
	s_mul_hi_u32 s0, s16, 0x3d10
	s_add_u32 s3, s3, s14
	s_addc_u32 s0, s0, 0
	s_add_u32 s3, s3, s24
	s_addc_u32 s0, s0, s25
	;; [unrolled: 2-line block ×3, first 2 shown]
	s_lshr_b64 s[14:15], s[24:25], 22
	s_lshl_b64 s[16:17], s[16:17], 14
	s_add_u32 s14, s14, s16
	s_addc_u32 s15, s15, s17
	s_mul_i32 s0, s15, 0x3d1
	s_mul_hi_u32 s3, s14, 0x3d1
	s_add_i32 s3, s3, s0
	s_mul_i32 s0, s14, 0x3d1
	s_add_u32 s16, s0, s29
	s_addc_u32 s17, s3, 0
	s_lshr_b64 s[18:19], s[16:17], 26
	s_lshl_b64 s[14:15], s[14:15], 6
	s_add_u32 s0, s14, s30
	s_addc_u32 s3, s15, 0
	s_add_u32 s14, s0, s18
	s_addc_u32 s15, s3, s19
	s_lshr_b64 s[18:19], s[14:15], 26
	s_add_u32 s13, s18, s31
	s_addc_u32 s15, s19, 0
	s_mov_b32 s18, 3
.LBB0_25:                               ; =>This Inner Loop Header: Depth=1
	s_lshl_b32 s21, s14, 1
	s_lshl_b32 s25, s2, 1
	;; [unrolled: 1-line block ×4, first 2 shown]
	s_and_b32 s9, s8, 0x3ffffff
	s_and_b32 s0, s6, 0x3ffffff
	;; [unrolled: 1-line block ×7, first 2 shown]
	s_lshl_b32 s5, s13, 1
	s_and_b32 s3, s10, 0x3ffffff
	s_and_b32 s28, s19, 0x7fffffe
	s_mul_i32 s61, s9, s25
	s_mul_i32 s63, s21, s0
	s_mul_hi_u32 s54, s9, s25
	s_mul_hi_u32 s62, s21, s0
	s_add_u32 s61, s61, s63
	s_mul_i32 s45, s3, s5
	s_addc_u32 s54, s54, s62
	s_mul_hi_u32 s47, s3, s5
	s_add_u32 s61, s61, s45
	s_mul_i32 s48, s7, s26
	s_addc_u32 s62, s54, s47
	s_mul_hi_u32 s23, s7, s26
	s_add_u32 s61, s61, s48
	s_mul_hi_u32 s53, s0, s0
	s_mul_i32 s19, s0, s0
	s_mul_hi_u32 s37, s0, s5
	s_mul_i32 s38, s0, s5
	s_mul_i32 s22, s11, s28
	s_mul_hi_u32 s59, s0, s28
	s_mul_i32 s60, s0, s28
	s_mul_hi_u32 s57, s0, s26
	;; [unrolled: 2-line block ×3, first 2 shown]
	s_mul_i32 s54, s0, s25
	s_addc_u32 s0, s62, s23
	s_mul_hi_u32 s20, s11, s28
	s_add_u32 s62, s61, s22
	s_addc_u32 s63, s0, s20
	s_mul_i32 s69, s9, s21
	s_and_b32 s0, s16, 0x3ffffff
	s_and_b32 s16, s62, 0x3fffffe
	s_lshr_b64 s[62:63], s[62:63], 26
	s_mul_hi_u32 s68, s9, s21
	s_mul_hi_u32 s20, s0, s0
	s_mul_i32 s22, s0, s0
	s_add_u32 s0, s69, s19
	s_mul_i32 s67, s3, s25
	s_addc_u32 s19, s68, s53
	s_mul_hi_u32 s66, s3, s25
	s_add_u32 s0, s0, s67
	s_mul_i32 s50, s7, s5
	s_addc_u32 s19, s19, s66
	s_mul_hi_u32 s46, s7, s5
	;; [unrolled: 4-line block ×3, first 2 shown]
	s_add_u32 s0, s0, s65
	s_addc_u32 s19, s19, s64
	s_add_u32 s62, s0, s62
	s_addc_u32 s63, s19, s63
	s_and_b32 s0, s62, 0x3ffffff
	s_lshr_b64 s[62:63], s[62:63], 26
	s_mul_i32 s23, s0, 0x3d10
	s_mul_hi_u32 s19, s0, 0x3d10
	s_add_u32 s64, s23, s22
	s_addc_u32 s65, s19, s20
	s_lshl_b32 s6, s6, 1
	s_lshl_b64 s[66:67], s[0:1], 10
	s_and_b32 s0, s14, 0x3ffffff
	s_and_b32 s6, s6, 0x7fffffe
	s_mul_hi_u32 s41, s9, s9
	s_mul_i32 s42, s9, s9
	s_mul_hi_u32 s31, s9, s5
	s_mul_i32 s34, s9, s5
	;; [unrolled: 2-line block ×7, first 2 shown]
	s_and_b32 s46, s64, 0x3fffffd
	s_lshr_b64 s[64:65], s[64:65], 26
	s_mul_hi_u32 s14, s28, s0
	s_mul_i32 s19, s28, s0
	s_mul_hi_u32 s20, s0, s0
	s_mul_i32 s22, s0, s0
	;; [unrolled: 2-line block ×3, first 2 shown]
	s_add_u32 s9, s73, s9
	s_mul_i32 s71, s7, s25
	s_addc_u32 s0, s72, s0
	s_mul_hi_u32 s70, s7, s25
	s_add_u32 s9, s9, s71
	s_mul_i32 s44, s11, s5
	s_addc_u32 s0, s0, s70
	s_mul_hi_u32 s43, s11, s5
	s_add_u32 s9, s9, s44
	s_addc_u32 s0, s0, s43
	s_add_u32 s62, s9, s62
	s_addc_u32 s63, s0, s63
	s_and_b32 s0, s62, 0x3ffffff
	s_lshr_b64 s[62:63], s[62:63], 26
	s_add_u32 s19, s66, s19
	s_addc_u32 s14, s67, s14
	s_add_u32 s19, s19, s64
	s_mul_i32 s43, s0, 0x3d10
	s_addc_u32 s14, s14, s65
	s_mul_hi_u32 s9, s0, 0x3d10
	s_add_u32 s64, s19, s43
	s_mul_i32 s74, s28, s15
	s_mul_hi_u32 s75, s28, s13
	s_addc_u32 s65, s14, s9
	s_mul_i32 s50, s3, s6
	s_and_b32 s14, s64, 0x3ffffff
	s_lshl_b64 s[66:67], s[0:1], 10
	s_add_i32 s75, s75, s74
	s_lshr_b64 s[64:65], s[64:65], 26
	s_mul_hi_u32 s23, s3, s6
	s_add_u32 s0, s50, s42
	s_addc_u32 s9, s23, s41
	s_add_u32 s0, s0, s80
	s_mul_i32 s78, s11, s25
	s_addc_u32 s9, s9, s79
	s_mul_hi_u32 s77, s11, s25
	s_add_u32 s0, s0, s78
	s_addc_u32 s9, s9, s77
	s_add_u32 s42, s0, s62
	s_addc_u32 s43, s9, s63
	s_mul_i32 s76, s28, s13
	s_and_b32 s0, s42, 0x3ffffff
	s_lshr_b64 s[42:43], s[42:43], 26
	s_add_u32 s22, s76, s22
	s_addc_u32 s20, s75, s20
	s_add_u32 s22, s22, s66
	s_mul_i32 s19, s0, 0x3d10
	s_addc_u32 s20, s20, s67
	s_mul_hi_u32 s9, s0, 0x3d10
	s_add_u32 s19, s22, s19
	s_addc_u32 s9, s20, s9
	s_add_u32 s62, s19, s64
	s_addc_u32 s63, s9, s65
	s_lshl_b64 s[64:65], s[0:1], 10
	s_and_b32 s0, s2, 0x3ffffff
	s_lshl_b32 s2, s8, 1
	s_mul_i32 s81, s26, s15
	s_mul_hi_u32 s82, s26, s13
	s_and_b32 s2, s2, 0x7fffffe
	s_mul_hi_u32 s29, s3, s3
	s_mul_i32 s30, s3, s3
	s_mul_hi_u32 s49, s3, s28
	s_mul_i32 s51, s3, s28
	;; [unrolled: 2-line block ×3, first 2 shown]
	s_mul_i32 s61, s7, s6
	s_and_b32 s19, s62, 0x3ffffff
	s_add_i32 s82, s82, s81
	s_lshr_b64 s[8:9], s[62:63], 26
	s_mul_hi_u32 s20, s0, s28
	s_mul_i32 s22, s0, s28
	s_mul_hi_u32 s23, s0, s26
	s_mul_i32 s41, s0, s26
	;; [unrolled: 2-line block ×5, first 2 shown]
	s_mul_hi_u32 s53, s7, s6
	s_mul_hi_u32 s69, s7, s2
	s_mul_i32 s70, s7, s2
	s_mul_hi_u32 s71, s11, s2
	s_mul_i32 s72, s11, s2
	s_add_u32 s2, s61, s3
	s_addc_u32 s0, s53, s0
	s_add_u32 s2, s2, s85
	s_addc_u32 s0, s0, s84
	;; [unrolled: 2-line block ×3, first 2 shown]
	s_mul_i32 s83, s26, s13
	s_and_b32 s0, s2, 0x3ffffff
	s_lshr_b64 s[42:43], s[2:3], 26
	s_add_u32 s22, s22, s83
	s_addc_u32 s20, s20, s82
	s_add_u32 s22, s22, s64
	s_mul_i32 s3, s0, 0x3d10
	s_addc_u32 s20, s20, s65
	s_mul_hi_u32 s2, s0, 0x3d10
	s_add_u32 s3, s22, s3
	s_addc_u32 s20, s20, s2
	s_mul_i32 s24, s13, s15
	s_mul_hi_u32 s27, s13, s13
	s_add_u32 s2, s3, s8
	s_addc_u32 s3, s20, s9
	s_lshl_b64 s[8:9], s[0:1], 10
	s_and_b32 s0, s4, 0x3ffffff
	s_add_i32 s4, s27, s24
	s_lshr_b64 s[62:63], s[2:3], 26
	s_add_i32 s22, s4, s24
	s_mul_i32 s17, s13, s13
	s_mul_hi_u32 s13, s7, s28
	s_mul_i32 s15, s7, s28
	s_mul_hi_u32 s3, s0, s28
	;; [unrolled: 2-line block ×6, first 2 shown]
	s_mul_i32 s75, s0, s0
	s_add_u32 s0, s70, s30
	s_mul_hi_u32 s68, s11, s6
	s_mul_i32 s6, s11, s6
	s_addc_u32 s4, s69, s29
	s_add_u32 s0, s0, s6
	s_addc_u32 s5, s4, s68
	s_add_u32 s4, s0, s42
	s_addc_u32 s5, s5, s43
	s_and_b32 s0, s4, 0x3ffffff
	s_lshr_b64 s[24:25], s[4:5], 26
	s_add_u32 s6, s41, s17
	s_addc_u32 s17, s23, s22
	s_add_u32 s6, s6, s20
	s_addc_u32 s3, s17, s3
	s_add_u32 s6, s6, s8
	s_mul_i32 s5, s0, 0x3d10
	s_addc_u32 s3, s3, s9
	s_mul_hi_u32 s4, s0, 0x3d10
	s_add_u32 s5, s6, s5
	s_addc_u32 s3, s3, s4
	s_add_u32 s4, s5, s62
	s_addc_u32 s5, s3, s63
	s_lshl_b64 s[8:9], s[0:1], 10
	s_lshl_b32 s0, s10, 1
	s_and_b32 s0, s0, 0x7fffffe
	s_lshr_b64 s[26:27], s[4:5], 26
	s_mul_i32 s5, s0, s7
	s_mul_hi_u32 s3, s0, s7
	s_mul_hi_u32 s10, s11, s0
	s_mul_i32 s17, s11, s0
	s_add_u32 s0, s72, s5
	s_addc_u32 s3, s71, s3
	s_add_u32 s6, s0, s24
	s_mul_hi_u32 s35, s7, s7
	s_mul_i32 s36, s7, s7
	s_addc_u32 s7, s3, s25
	s_and_b32 s0, s6, 0x3ffffff
	s_lshr_b64 s[24:25], s[6:7], 26
	s_add_u32 s6, s53, s50
	s_addc_u32 s7, s28, s44
	s_add_u32 s6, s6, s60
	s_addc_u32 s7, s7, s59
	s_add_u32 s6, s6, s8
	s_mul_i32 s5, s0, 0x3d10
	s_addc_u32 s7, s7, s9
	s_mul_hi_u32 s3, s0, 0x3d10
	s_add_u32 s5, s6, s5
	s_addc_u32 s3, s7, s3
	s_add_u32 s6, s5, s26
	s_addc_u32 s7, s3, s27
	s_lshl_b64 s[8:9], s[0:1], 10
	s_lshr_b64 s[26:27], s[6:7], 26
	s_add_u32 s0, s17, s36
	s_addc_u32 s3, s10, s35
	s_add_u32 s24, s0, s24
	s_addc_u32 s25, s3, s25
	s_and_b32 s0, s24, 0x3ffffff
	s_lshr_b64 s[24:25], s[24:25], 26
	s_add_u32 s7, s64, s67
	s_addc_u32 s10, s61, s66
	s_add_u32 s7, s7, s58
	s_addc_u32 s10, s10, s57
	;; [unrolled: 2-line block ×3, first 2 shown]
	s_add_u32 s7, s7, s8
	s_mul_i32 s5, s0, 0x3d10
	s_addc_u32 s8, s10, s9
	s_mul_hi_u32 s3, s0, 0x3d10
	s_add_u32 s5, s7, s5
	s_addc_u32 s3, s8, s3
	s_add_u32 s8, s5, s26
	s_addc_u32 s9, s3, s27
	s_lshl_b64 s[26:27], s[0:1], 10
	s_lshl_b32 s0, s12, 1
	s_and_b32 s0, s0, 0x7fffffe
	s_lshr_b64 s[28:29], s[8:9], 26
	s_mul_hi_u32 s3, s0, s11
	s_mul_i32 s0, s0, s11
	s_add_u32 s10, s24, s0
	s_mul_hi_u32 s39, s11, s11
	s_mul_i32 s40, s11, s11
	s_addc_u32 s11, s25, s3
	s_and_b32 s0, s10, 0x3ffffff
	s_lshr_b64 s[24:25], s[10:11], 26
	s_add_u32 s7, s38, s73
	s_addc_u32 s9, s37, s65
	s_add_u32 s7, s7, s55
	s_addc_u32 s9, s9, s21
	;; [unrolled: 2-line block ×3, first 2 shown]
	s_add_u32 s7, s7, s26
	s_mul_i32 s5, s0, 0x3d10
	s_addc_u32 s9, s9, s27
	s_mul_hi_u32 s3, s0, 0x3d10
	s_add_u32 s5, s7, s5
	s_addc_u32 s3, s9, s3
	s_add_u32 s10, s5, s28
	s_addc_u32 s11, s3, s29
	s_lshl_b64 s[26:27], s[0:1], 10
	s_lshr_b64 s[28:29], s[10:11], 26
	s_add_u32 s24, s24, s40
	s_addc_u32 s25, s25, s39
	s_and_b32 s0, s24, 0x3ffffff
	s_lshr_b64 s[36:37], s[24:25], 26
	s_add_u32 s7, s54, s75
	s_addc_u32 s12, s48, s74
	s_add_u32 s7, s7, s34
	s_addc_u32 s12, s12, s31
	;; [unrolled: 2-line block ×4, first 2 shown]
	s_add_u32 s7, s7, s26
	s_mul_i32 s5, s0, 0x3d10
	s_addc_u32 s12, s12, s27
	s_mul_hi_u32 s3, s0, 0x3d10
	s_add_u32 s5, s7, s5
	s_addc_u32 s3, s12, s3
	s_add_u32 s12, s5, s28
	s_addc_u32 s13, s3, s29
	s_mul_i32 s11, s36, 0x3d10
	s_lshl_b64 s[24:25], s[0:1], 10
	s_lshr_b64 s[26:27], s[12:13], 26
	s_mul_hi_u32 s9, s36, 0x3d10
	s_add_u32 s0, s11, s16
	s_addc_u32 s3, s9, 0
	s_add_u32 s0, s0, s24
	s_addc_u32 s3, s3, s25
	;; [unrolled: 2-line block ×3, first 2 shown]
	s_lshl_b64 s[16:17], s[36:37], 14
	s_lshr_b64 s[26:27], s[24:25], 22
	s_add_u32 s26, s26, s16
	s_addc_u32 s27, s27, s17
	s_mul_hi_u32 s0, s26, 0x3d1
	s_mul_i32 s5, s27, 0x3d1
	s_mul_i32 s3, s26, 0x3d1
	s_add_i32 s0, s0, s5
	s_add_u32 s16, s3, s46
	s_addc_u32 s17, s0, 0
	s_lshl_b64 s[26:27], s[26:27], 6
	s_lshr_b64 s[28:29], s[16:17], 26
	s_add_u32 s0, s26, s14
	s_addc_u32 s3, s27, 0
	s_add_u32 s14, s0, s28
	s_addc_u32 s15, s3, s29
	s_lshr_b64 s[26:27], s[14:15], 26
	s_add_u32 s13, s26, s19
	s_addc_u32 s15, s27, 0
	s_add_i32 s18, s18, -1
	s_cmp_lg_u32 s18, 0
	s_cbranch_scc1 .LBB0_25
; %bb.26:
	v_readlane_b32 s52, v15, 10
	s_and_b32 s27, s10, 0x3ffffff
	v_readlane_b32 s50, v15, 6
	v_readlane_b32 s49, v15, 7
	s_mul_i32 s7, s15, s52
	s_mul_hi_u32 s9, s13, s52
	s_and_b32 s17, s2, 0x3ffffff
	v_readlane_b32 s53, v15, 11
	s_and_b32 s18, s4, 0x3ffffff
	v_readlane_b32 s54, v15, 12
	s_mul_i32 s10, s27, s50
	s_mul_hi_u32 s22, s27, s49
	s_and_b32 s16, s16, 0x3ffffff
	s_and_b32 s14, s14, 0x3ffffff
	s_add_i32 s9, s9, s7
	s_mul_i32 s11, s17, s53
	s_mul_i32 s19, s18, s54
	s_and_b32 s26, s6, 0x3ffffff
	s_and_b32 s25, s8, 0x3ffffff
	s_add_i32 s22, s22, s10
	s_and_b32 s28, s12, 0x3ffffff
	s_and_b32 s24, s24, 0x3fffff
	s_mul_hi_u32 s2, s17, s53
	s_mul_hi_u32 s4, s18, s54
	v_readlane_b32 s58, v15, 13
	s_add_u32 s11, s19, s11
	s_mul_i32 s20, s26, s58
	s_addc_u32 s2, s4, s2
	s_mul_hi_u32 s6, s26, s58
	v_readlane_b32 s57, v15, 8
	s_add_u32 s4, s11, s20
	s_mul_i32 s21, s25, s57
	s_addc_u32 s2, s2, s6
	s_mul_hi_u32 s8, s25, s57
	s_add_u32 s4, s4, s21
	s_mul_i32 s10, s27, s49
	s_addc_u32 s2, s2, s8
	v_readlane_b32 s56, v15, 5
	s_add_u32 s4, s4, s10
	s_mul_i32 s23, s28, s56
	s_addc_u32 s2, s2, s22
	s_mul_hi_u32 s12, s28, s56
	v_readlane_b32 s55, v15, 4
	s_add_u32 s4, s4, s23
	s_mul_i32 s30, s24, s55
	s_addc_u32 s2, s2, s12
	v_readlane_b32 s48, v15, 14
	s_mul_hi_u32 s29, s24, s55
	s_add_u32 s4, s4, s30
	s_mul_i32 s1, s16, s48
	s_addc_u32 s2, s2, s29
	s_mul_hi_u32 s0, s16, s48
	v_readlane_b32 s51, v15, 9
	s_add_u32 s1, s4, s1
	s_mul_i32 s5, s14, s51
	s_addc_u32 s0, s2, s0
	s_mul_hi_u32 s3, s14, s51
	s_add_u32 s1, s1, s5
	s_mul_i32 s7, s13, s52
	s_addc_u32 s0, s0, s3
	s_add_u32 s2, s1, s7
	s_addc_u32 s3, s0, s9
	s_mul_i32 s7, s15, s51
	s_mul_hi_u32 s8, s13, s51
	s_mul_i32 s31, s28, s50
	s_mul_hi_u32 s34, s28, s49
	s_and_b32 s12, s2, 0x3ffffff
	s_lshr_b64 s[2:3], s[2:3], 26
	s_add_i32 s8, s8, s7
	s_mul_i32 s10, s17, s52
	s_mul_i32 s19, s18, s53
	s_add_i32 s34, s34, s31
	s_mul_hi_u32 s9, s17, s52
	s_mul_hi_u32 s11, s18, s53
	s_add_u32 s10, s19, s10
	s_mul_i32 s21, s26, s54
	s_addc_u32 s9, s11, s9
	s_mul_hi_u32 s20, s26, s54
	s_add_u32 s10, s10, s21
	s_mul_i32 s23, s25, s58
	s_addc_u32 s9, s9, s20
	;; [unrolled: 4-line block ×4, first 2 shown]
	s_add_u32 s10, s10, s31
	s_mul_i32 s36, s24, s56
	s_addc_u32 s9, s9, s34
	s_mul_hi_u32 s35, s24, s56
	s_add_u32 s10, s10, s36
	s_mul_i32 s6, s14, s48
	s_addc_u32 s9, s9, s35
	s_mul_hi_u32 s0, s14, s48
	s_add_u32 s6, s10, s6
	s_mul_i32 s7, s13, s51
	s_addc_u32 s0, s9, s0
	s_add_u32 s6, s6, s7
	s_addc_u32 s0, s0, s8
	s_add_u32 s2, s6, s2
	s_addc_u32 s3, s0, s3
	s_and_b32 s0, s2, 0x3ffffff
	s_mul_i32 s4, s16, s55
	s_lshr_b64 s[2:3], s[2:3], 26
	s_mul_i32 s7, s0, 0x3d10
	s_mov_b32 s1, 0
	s_mul_hi_u32 s5, s16, s55
	s_mul_hi_u32 s6, s0, 0x3d10
	s_add_u32 s4, s7, s4
	s_addc_u32 s5, s6, s5
	s_lshl_b64 s[6:7], s[0:1], 10
	s_mul_i32 s0, s15, s48
	s_mul_hi_u32 s19, s13, s48
	s_mul_i32 s40, s24, s50
	s_mul_hi_u32 s41, s24, s49
	s_and_b32 s29, s4, 0x3ffffff
	s_lshr_b64 s[4:5], s[4:5], 26
	s_add_i32 s19, s19, s0
	s_mul_i32 s21, s17, s51
	s_mul_i32 s23, s18, s52
	s_add_i32 s41, s41, s40
	s_mul_hi_u32 s20, s17, s51
	s_mul_hi_u32 s22, s18, s52
	s_add_u32 s21, s23, s21
	s_mul_i32 s31, s26, s53
	s_addc_u32 s20, s22, s20
	s_mul_hi_u32 s30, s26, s53
	s_add_u32 s21, s21, s31
	s_mul_i32 s35, s25, s54
	s_addc_u32 s20, s20, s30
	;; [unrolled: 4-line block ×5, first 2 shown]
	s_add_u32 s21, s21, s40
	s_mul_i32 s0, s13, s48
	s_addc_u32 s20, s20, s41
	s_add_u32 s0, s21, s0
	s_addc_u32 s19, s20, s19
	s_add_u32 s2, s0, s2
	s_addc_u32 s3, s19, s3
	s_mul_i32 s9, s16, s56
	s_mul_i32 s11, s14, s55
	s_and_b32 s0, s2, 0x3ffffff
	s_lshr_b64 s[2:3], s[2:3], 26
	s_mul_hi_u32 s8, s16, s56
	s_mul_hi_u32 s10, s14, s55
	s_add_u32 s9, s11, s9
	s_addc_u32 s8, s10, s8
	s_add_u32 s6, s9, s6
	s_addc_u32 s7, s8, s7
	s_add_u32 s4, s6, s4
	s_mul_i32 s20, s0, 0x3d10
	s_addc_u32 s5, s7, s5
	s_mul_hi_u32 s19, s0, 0x3d10
	s_add_u32 s4, s4, s20
	s_addc_u32 s5, s5, s19
	s_lshl_b64 s[6:7], s[0:1], 10
	s_mul_i32 s0, s16, s50
	s_mul_hi_u32 s8, s16, s49
	s_add_i32 s8, s8, s0
	s_mul_i32 s0, s15, s55
	s_mul_hi_u32 s19, s13, s55
	s_and_b32 s30, s4, 0x3ffffff
	s_lshr_b64 s[4:5], s[4:5], 26
	s_add_i32 s19, s19, s0
	s_mul_i32 s21, s17, s48
	s_mul_i32 s23, s18, s51
	s_mul_hi_u32 s0, s17, s48
	s_mul_hi_u32 s22, s18, s51
	s_add_u32 s21, s23, s21
	s_mul_i32 s34, s26, s52
	s_addc_u32 s0, s22, s0
	s_mul_hi_u32 s31, s26, s52
	s_add_u32 s21, s21, s34
	s_mul_i32 s36, s25, s53
	s_addc_u32 s0, s0, s31
	;; [unrolled: 4-line block ×5, first 2 shown]
	s_mul_hi_u32 s41, s24, s57
	s_add_u32 s21, s21, s42
	s_addc_u32 s0, s0, s41
	s_add_u32 s2, s21, s2
	s_addc_u32 s3, s0, s3
	s_mul_i32 s9, s16, s49
	s_mul_i32 s11, s14, s56
	s_and_b32 s0, s2, 0x3ffffff
	s_lshr_b64 s[2:3], s[2:3], 26
	s_mul_hi_u32 s10, s14, s56
	s_add_u32 s9, s11, s9
	s_mul_i32 s20, s13, s55
	s_addc_u32 s8, s10, s8
	s_add_u32 s9, s9, s20
	s_addc_u32 s8, s8, s19
	s_add_u32 s6, s9, s6
	s_mul_i32 s22, s0, 0x3d10
	s_addc_u32 s7, s8, s7
	s_mul_hi_u32 s21, s0, 0x3d10
	s_add_u32 s6, s6, s22
	s_addc_u32 s7, s7, s21
	s_add_u32 s4, s6, s4
	s_addc_u32 s5, s7, s5
	s_lshl_b64 s[6:7], s[0:1], 10
	s_mul_i32 s0, s14, s50
	s_mul_hi_u32 s8, s14, s49
	s_add_i32 s19, s8, s0
	s_mul_i32 s0, s15, s56
	s_mul_hi_u32 s8, s13, s56
	s_and_b32 s31, s4, 0x3ffffff
	s_lshr_b64 s[4:5], s[4:5], 26
	s_add_i32 s21, s8, s0
	s_mul_i32 s8, s18, s48
	s_mul_i32 s35, s26, s51
	s_mul_hi_u32 s0, s18, s48
	s_mul_hi_u32 s9, s26, s51
	s_add_u32 s8, s35, s8
	s_mul_i32 s37, s25, s52
	s_addc_u32 s0, s9, s0
	s_mul_hi_u32 s36, s25, s52
	s_add_u32 s8, s8, s37
	s_mul_i32 s39, s27, s53
	s_addc_u32 s0, s0, s36
	s_mul_hi_u32 s38, s27, s53
	s_add_u32 s8, s8, s39
	s_mul_i32 s41, s28, s54
	s_addc_u32 s0, s0, s38
	s_mul_hi_u32 s40, s28, s54
	s_add_u32 s8, s8, s41
	s_mul_i32 s43, s24, s58
	s_addc_u32 s0, s0, s40
	s_mul_hi_u32 s42, s24, s58
	s_add_u32 s8, s8, s43
	s_addc_u32 s0, s0, s42
	s_add_u32 s2, s8, s2
	s_addc_u32 s3, s0, s3
	s_mul_i32 s11, s16, s57
	s_mul_i32 s34, s17, s55
	s_and_b32 s0, s2, 0x3ffffff
	s_lshr_b64 s[8:9], s[2:3], 26
	s_mul_hi_u32 s10, s16, s57
	s_mul_hi_u32 s23, s17, s55
	s_add_u32 s11, s11, s34
	s_mul_i32 s20, s14, s49
	s_addc_u32 s10, s10, s23
	s_add_u32 s11, s11, s20
	s_mul_i32 s22, s13, s56
	s_addc_u32 s10, s10, s19
	s_add_u32 s11, s11, s22
	s_addc_u32 s10, s10, s21
	s_add_u32 s6, s11, s6
	s_mul_i32 s3, s0, 0x3d10
	s_addc_u32 s7, s10, s7
	s_mul_hi_u32 s2, s0, 0x3d10
	s_add_u32 s3, s6, s3
	s_addc_u32 s6, s7, s2
	s_add_u32 s2, s3, s4
	s_addc_u32 s3, s6, s5
	s_lshl_b64 s[6:7], s[0:1], 10
	s_mul_i32 s0, s13, s50
	s_mul_hi_u32 s20, s13, s49
	s_add_i32 s0, s20, s0
	s_mul_i32 s20, s15, s49
	s_lshr_b64 s[4:5], s[2:3], 26
	s_add_i32 s20, s0, s20
	s_mul_i32 s36, s26, s48
	s_mul_i32 s38, s25, s51
	s_mul_hi_u32 s0, s26, s48
	s_mul_hi_u32 s37, s25, s51
	s_add_u32 s36, s38, s36
	s_mul_i32 s40, s27, s52
	s_addc_u32 s0, s37, s0
	s_mul_hi_u32 s39, s27, s52
	s_add_u32 s36, s36, s40
	s_mul_i32 s42, s28, s53
	s_addc_u32 s0, s0, s39
	;; [unrolled: 4-line block ×3, first 2 shown]
	s_mul_hi_u32 s43, s24, s54
	s_add_u32 s36, s36, s44
	s_addc_u32 s0, s0, s43
	s_add_u32 s8, s36, s8
	s_addc_u32 s9, s0, s9
	s_mul_i32 s23, s17, s56
	s_mul_i32 s35, s18, s55
	s_and_b32 s0, s8, 0x3ffffff
	s_lshr_b64 s[8:9], s[8:9], 26
	s_mul_hi_u32 s22, s17, s56
	s_mul_hi_u32 s34, s18, s55
	s_add_u32 s23, s35, s23
	s_mul_i32 s10, s16, s58
	s_addc_u32 s22, s34, s22
	s_mul_hi_u32 s3, s16, s58
	s_add_u32 s10, s23, s10
	s_mul_i32 s19, s14, s57
	s_addc_u32 s3, s22, s3
	;; [unrolled: 4-line block ×3, first 2 shown]
	s_add_u32 s10, s10, s21
	s_addc_u32 s3, s3, s20
	s_add_u32 s6, s10, s6
	s_mul_i32 s37, s0, 0x3d10
	s_addc_u32 s3, s3, s7
	s_mul_hi_u32 s36, s0, 0x3d10
	s_add_u32 s6, s6, s37
	s_addc_u32 s3, s3, s36
	s_add_u32 s4, s6, s4
	s_addc_u32 s5, s3, s5
	s_lshl_b64 s[10:11], s[0:1], 10
	s_mul_i32 s0, s15, s57
	s_mul_hi_u32 s21, s13, s57
	s_add_i32 s21, s21, s0
	s_mul_i32 s0, s17, s50
	s_mul_hi_u32 s23, s17, s49
	s_lshr_b64 s[6:7], s[4:5], 26
	s_add_i32 s23, s23, s0
	s_mul_i32 s39, s25, s48
	s_mul_i32 s41, s27, s51
	s_mul_hi_u32 s0, s25, s48
	s_mul_hi_u32 s40, s27, s51
	s_add_u32 s39, s41, s39
	s_mul_i32 s43, s28, s52
	s_addc_u32 s0, s40, s0
	s_mul_hi_u32 s42, s28, s52
	s_add_u32 s39, s39, s43
	s_mul_i32 s45, s24, s53
	s_addc_u32 s0, s0, s42
	s_mul_hi_u32 s44, s24, s53
	s_add_u32 s39, s39, s45
	s_addc_u32 s0, s0, s44
	s_add_u32 s8, s39, s8
	s_addc_u32 s9, s0, s9
	s_mul_i32 s34, s17, s49
	s_mul_i32 s36, s18, s56
	s_and_b32 s0, s8, 0x3ffffff
	s_lshr_b64 s[8:9], s[8:9], 26
	s_mul_hi_u32 s35, s18, s56
	s_add_u32 s34, s36, s34
	s_mul_i32 s38, s26, s55
	s_addc_u32 s23, s35, s23
	s_mul_hi_u32 s37, s26, s55
	s_add_u32 s34, s34, s38
	s_mul_i32 s5, s16, s54
	s_addc_u32 s23, s23, s37
	;; [unrolled: 4-line block ×4, first 2 shown]
	s_add_u32 s5, s5, s22
	s_addc_u32 s3, s3, s21
	s_add_u32 s5, s5, s10
	s_mul_i32 s40, s0, 0x3d10
	s_addc_u32 s3, s3, s11
	s_mul_hi_u32 s39, s0, 0x3d10
	s_add_u32 s5, s5, s40
	s_addc_u32 s3, s3, s39
	s_add_u32 s6, s5, s6
	s_addc_u32 s7, s3, s7
	s_lshl_b64 s[34:35], s[0:1], 10
	s_mul_i32 s0, s15, s58
	s_mul_hi_u32 s20, s13, s58
	s_add_i32 s20, s20, s0
	s_mul_i32 s0, s18, s50
	s_mul_hi_u32 s36, s18, s49
	s_lshr_b64 s[10:11], s[6:7], 26
	s_add_i32 s38, s36, s0
	s_mul_i32 s36, s27, s48
	s_mul_i32 s44, s28, s51
	s_mul_hi_u32 s0, s27, s48
	s_mul_hi_u32 s37, s28, s51
	s_add_u32 s36, s44, s36
	s_mul_i32 s46, s24, s52
	s_addc_u32 s0, s37, s0
	s_mul_hi_u32 s45, s24, s52
	s_add_u32 s36, s36, s46
	s_addc_u32 s0, s0, s45
	s_add_u32 s8, s36, s8
	s_addc_u32 s9, s0, s9
	s_mul_i32 s23, s17, s57
	s_mul_i32 s39, s18, s49
	s_and_b32 s0, s8, 0x3ffffff
	s_lshr_b64 s[36:37], s[8:9], 26
	s_mul_hi_u32 s22, s17, s57
	s_add_u32 s23, s39, s23
	s_mul_i32 s41, s26, s56
	s_addc_u32 s22, s38, s22
	s_mul_hi_u32 s40, s26, s56
	s_add_u32 s23, s23, s41
	s_mul_i32 s43, s25, s55
	s_addc_u32 s22, s22, s40
	;; [unrolled: 4-line block ×5, first 2 shown]
	s_add_u32 s5, s5, s21
	s_addc_u32 s3, s3, s20
	s_add_u32 s5, s5, s34
	s_mul_i32 s9, s0, 0x3d10
	s_addc_u32 s3, s3, s35
	s_mul_hi_u32 s8, s0, 0x3d10
	s_add_u32 s5, s5, s9
	s_addc_u32 s3, s3, s8
	s_add_u32 s8, s5, s10
	s_addc_u32 s9, s3, s11
	s_lshl_b64 s[34:35], s[0:1], 10
	s_mul_i32 s0, s15, s54
	s_mul_hi_u32 s19, s13, s54
	s_add_i32 s19, s19, s0
	s_mul_i32 s0, s26, s50
	s_mul_hi_u32 s39, s26, s49
	s_lshr_b64 s[10:11], s[8:9], 26
	s_add_i32 s39, s39, s0
	s_mul_i32 s45, s28, s48
	s_mul_i32 s47, s24, s51
	s_mul_hi_u32 s0, s28, s48
	s_mul_hi_u32 s46, s24, s51
	s_add_u32 s45, s47, s45
	s_addc_u32 s0, s46, s0
	s_add_u32 s36, s45, s36
	s_addc_u32 s37, s0, s37
	s_mul_i32 s22, s17, s58
	s_mul_i32 s38, s18, s57
	s_and_b32 s0, s36, 0x3ffffff
	s_lshr_b64 s[36:37], s[36:37], 26
	s_mul_hi_u32 s21, s17, s58
	s_mul_hi_u32 s23, s18, s57
	s_add_u32 s22, s38, s22
	s_mul_i32 s40, s26, s49
	s_addc_u32 s21, s23, s21
	s_add_u32 s22, s22, s40
	s_mul_i32 s42, s25, s56
	s_addc_u32 s21, s21, s39
	s_mul_hi_u32 s41, s25, s56
	s_add_u32 s22, s22, s42
	s_mul_i32 s44, s27, s55
	s_addc_u32 s21, s21, s41
	s_mul_hi_u32 s43, s27, s55
	s_add_u32 s22, s22, s44
	s_mul_i32 s5, s16, s52
	s_addc_u32 s21, s21, s43
	s_mul_hi_u32 s3, s16, s52
	s_add_u32 s5, s22, s5
	s_mul_i32 s9, s14, s53
	s_addc_u32 s3, s21, s3
	s_mul_hi_u32 s7, s14, s53
	s_add_u32 s5, s5, s9
	s_mul_i32 s20, s13, s54
	s_addc_u32 s3, s3, s7
	s_add_u32 s5, s5, s20
	s_addc_u32 s3, s3, s19
	s_add_u32 s5, s5, s34
	s_mul_i32 s46, s0, 0x3d10
	s_addc_u32 s3, s3, s35
	s_mul_hi_u32 s45, s0, 0x3d10
	s_add_u32 s5, s5, s46
	s_addc_u32 s3, s3, s45
	s_add_u32 s10, s5, s10
	s_addc_u32 s11, s3, s11
	s_lshr_b64 s[34:35], s[10:11], 26
	s_lshl_b64 s[38:39], s[0:1], 10
	s_mul_i32 s0, s15, s53
	s_mul_hi_u32 s11, s13, s53
	s_mul_hi_u32 s7, s14, s52
	s_mul_i32 s9, s14, s52
	s_add_i32 s11, s11, s0
	s_mul_i32 s0, s25, s50
	s_mul_hi_u32 s14, s25, s49
	s_add_i32 s23, s14, s0
	s_mul_hi_u32 s0, s24, s48
	s_mul_i32 s24, s24, s48
	s_add_u32 s14, s36, s24
	s_addc_u32 s15, s37, s0
	s_mul_hi_u32 s3, s16, s51
	s_mul_i32 s5, s16, s51
	s_mul_hi_u32 s19, s17, s54
	s_mul_i32 s20, s17, s54
	;; [unrolled: 2-line block ×3, first 2 shown]
	s_and_b32 s0, s14, 0x3ffffff
	s_lshr_b64 s[16:17], s[14:15], 26
	s_add_u32 s18, s18, s20
	s_mul_hi_u32 s22, s26, s57
	s_mul_i32 s26, s26, s57
	s_addc_u32 s19, s21, s19
	s_add_u32 s18, s18, s26
	s_mul_i32 s25, s25, s49
	s_addc_u32 s19, s19, s22
	s_add_u32 s18, s18, s25
	s_mul_hi_u32 s40, s27, s56
	s_mul_i32 s27, s27, s56
	s_addc_u32 s19, s19, s23
	s_add_u32 s18, s18, s27
	s_mul_hi_u32 s41, s28, s55
	s_mul_i32 s28, s28, s55
	s_addc_u32 s19, s19, s40
	s_add_u32 s18, s18, s28
	s_addc_u32 s19, s19, s41
	s_add_u32 s5, s18, s5
	;; [unrolled: 2-line block ×3, first 2 shown]
	s_mul_i32 s13, s13, s53
	s_addc_u32 s3, s3, s7
	s_add_u32 s5, s5, s13
	s_addc_u32 s3, s3, s11
	s_add_u32 s5, s5, s38
	s_mul_i32 s15, s0, 0x3d10
	s_addc_u32 s3, s3, s39
	s_mul_hi_u32 s14, s0, 0x3d10
	s_add_u32 s5, s5, s15
	s_addc_u32 s3, s3, s14
	s_add_u32 s14, s5, s34
	s_addc_u32 s15, s3, s35
	s_lshr_b64 s[18:19], s[14:15], 26
	s_lshl_b64 s[24:25], s[0:1], 10
	s_mul_i32 s3, s16, 0x3d10
	s_mul_hi_u32 s0, s16, 0x3d10
	s_add_u32 s3, s3, s12
	s_addc_u32 s0, s0, 0
	s_add_u32 s3, s3, s24
	s_addc_u32 s0, s0, s25
	;; [unrolled: 2-line block ×3, first 2 shown]
	s_lshr_b64 s[12:13], s[26:27], 22
	s_lshl_b64 s[16:17], s[16:17], 14
	s_add_u32 s12, s12, s16
	s_addc_u32 s13, s13, s17
	s_mul_i32 s0, s13, 0x3d1
	s_mul_hi_u32 s3, s12, 0x3d1
	s_add_i32 s3, s3, s0
	s_mul_i32 s0, s12, 0x3d1
	s_add_u32 s24, s0, s29
	s_addc_u32 s25, s3, 0
	s_lshr_b64 s[16:17], s[24:25], 26
	s_lshl_b64 s[12:13], s[12:13], 6
	s_add_u32 s0, s12, s30
	s_addc_u32 s3, s13, 0
	s_add_u32 s16, s0, s16
	s_addc_u32 s17, s3, s17
	s_lshr_b64 s[12:13], s[16:17], 26
	s_add_u32 s7, s12, s31
	s_addc_u32 s9, s13, 0
	s_mov_b64 s[12:13], -1
.LBB0_27:                               ; =>This Inner Loop Header: Depth=1
	s_lshl_b32 s21, s24, 1
	s_lshl_b32 s28, s2, 1
	s_lshl_b32 s20, s4, 1
	s_lshl_b32 s25, s16, 1
	s_and_b32 s17, s8, 0x3ffffff
	s_and_b32 s0, s6, 0x3ffffff
	;; [unrolled: 1-line block ×7, first 2 shown]
	s_lshl_b32 s5, s7, 1
	s_and_b32 s3, s10, 0x3ffffff
	s_and_b32 s25, s25, 0x7fffffe
	s_mul_i32 s48, s17, s21
	s_mul_i32 s56, s42, s0
	s_mul_hi_u32 s45, s17, s21
	s_mul_hi_u32 s50, s42, s0
	s_add_u32 s48, s48, s56
	s_mul_i32 s44, s3, s5
	s_addc_u32 s45, s45, s50
	s_mul_hi_u32 s43, s3, s5
	s_add_u32 s48, s48, s44
	s_mul_i32 s46, s15, s25
	s_addc_u32 s43, s45, s43
	;; [unrolled: 4-line block ×3, first 2 shown]
	s_mul_hi_u32 s20, s11, s27
	s_add_u32 s64, s64, s22
	s_addc_u32 s65, s23, s20
	s_mul_i32 s19, s7, s9
	s_mul_hi_u32 s26, s7, s7
	s_mul_i32 s18, s7, s7
	s_mul_hi_u32 s57, s0, s0
	;; [unrolled: 2-line block ×3, first 2 shown]
	s_mul_i32 s37, s0, s5
	s_mul_i32 s70, s17, s42
	s_mul_hi_u32 s76, s27, s7
	s_mul_i32 s77, s27, s7
	s_mul_hi_u32 s83, s25, s7
	;; [unrolled: 2-line block ×5, first 2 shown]
	s_mul_i32 s50, s0, s21
	s_and_b32 s43, s64, 0x3fffffe
	s_and_b32 s0, s24, 0x3ffffff
	s_lshr_b64 s[64:65], s[64:65], 26
	s_mul_hi_u32 s69, s17, s42
	s_mul_hi_u32 s20, s0, s0
	s_mul_i32 s22, s0, s0
	s_add_u32 s0, s70, s58
	s_mul_i32 s68, s3, s21
	s_addc_u32 s23, s69, s57
	s_mul_hi_u32 s67, s3, s21
	s_add_u32 s0, s0, s68
	s_mul_i32 s55, s15, s5
	s_addc_u32 s23, s23, s67
	s_mul_hi_u32 s53, s15, s5
	;; [unrolled: 4-line block ×3, first 2 shown]
	s_add_u32 s0, s0, s66
	s_addc_u32 s23, s23, s63
	s_add_u32 s64, s0, s64
	s_addc_u32 s65, s23, s65
	s_and_b32 s0, s64, 0x3ffffff
	s_lshr_b64 s[64:65], s[64:65], 26
	s_mul_i32 s24, s0, 0x3d10
	s_mul_hi_u32 s23, s0, 0x3d10
	s_add_u32 s66, s24, s22
	s_addc_u32 s67, s23, s20
	s_lshl_b32 s6, s6, 1
	s_and_b32 s6, s6, 0x7fffffe
	s_mul_i32 s74, s3, s42
	s_and_b32 s24, s66, 0x3fffffd
	s_lshl_b64 s[68:69], s[0:1], 10
	s_and_b32 s0, s16, 0x3ffffff
	s_lshr_b64 s[66:67], s[66:67], 26
	s_mul_i32 s16, s6, s17
	s_mul_hi_u32 s73, s3, s42
	s_mul_hi_u32 s20, s27, s0
	s_mul_i32 s22, s27, s0
	s_mul_hi_u32 s23, s0, s0
	s_mul_i32 s53, s0, s0
	s_mul_hi_u32 s0, s6, s17
	s_add_u32 s16, s74, s16
	s_mul_i32 s72, s15, s21
	s_addc_u32 s0, s73, s0
	s_mul_hi_u32 s71, s15, s21
	s_add_u32 s16, s16, s72
	s_mul_i32 s49, s11, s5
	s_addc_u32 s0, s0, s71
	s_mul_hi_u32 s47, s11, s5
	s_add_u32 s16, s16, s49
	s_addc_u32 s0, s0, s47
	s_add_u32 s16, s16, s64
	s_mul_hi_u32 s40, s17, s17
	s_mul_i32 s41, s17, s17
	s_mul_hi_u32 s30, s17, s5
	s_mul_i32 s31, s17, s5
	s_mul_i32 s75, s27, s9
	;; [unrolled: 1-line block ×3, first 2 shown]
	s_mul_hi_u32 s9, s17, s27
	s_mul_i32 s59, s17, s27
	s_mul_hi_u32 s54, s17, s25
	s_mul_i32 s56, s17, s25
	s_addc_u32 s17, s0, s65
	s_and_b32 s0, s16, 0x3ffffff
	s_lshr_b64 s[64:65], s[16:17], 26
	s_add_u32 s22, s68, s22
	s_addc_u32 s20, s69, s20
	s_add_u32 s22, s22, s66
	s_mul_i32 s17, s0, 0x3d10
	s_addc_u32 s20, s20, s67
	s_mul_hi_u32 s16, s0, 0x3d10
	s_add_u32 s66, s22, s17
	s_addc_u32 s67, s20, s16
	s_mul_i32 s57, s3, s6
	s_and_b32 s16, s66, 0x3ffffff
	s_lshl_b64 s[68:69], s[0:1], 10
	s_add_i32 s76, s76, s75
	s_lshr_b64 s[66:67], s[66:67], 26
	s_mul_hi_u32 s55, s3, s6
	s_add_u32 s0, s57, s41
	s_mul_i32 s81, s15, s42
	s_addc_u32 s17, s55, s40
	s_mul_hi_u32 s80, s15, s42
	s_add_u32 s0, s0, s81
	s_mul_i32 s79, s11, s21
	s_addc_u32 s17, s17, s80
	s_mul_hi_u32 s78, s11, s21
	s_add_u32 s0, s0, s79
	s_addc_u32 s17, s17, s78
	s_add_u32 s40, s0, s64
	s_addc_u32 s41, s17, s65
	s_and_b32 s0, s40, 0x3ffffff
	s_lshr_b64 s[64:65], s[40:41], 26
	s_add_u32 s22, s77, s53
	s_addc_u32 s23, s76, s23
	s_add_u32 s22, s22, s68
	s_mul_i32 s20, s0, 0x3d10
	s_addc_u32 s23, s23, s69
	s_mul_hi_u32 s17, s0, 0x3d10
	s_add_u32 s20, s22, s20
	s_addc_u32 s17, s23, s17
	s_add_u32 s66, s20, s66
	s_addc_u32 s67, s17, s67
	s_lshl_b64 s[68:69], s[0:1], 10
	s_and_b32 s0, s2, 0x3ffffff
	s_lshl_b32 s2, s8, 1
	s_and_b32 s2, s2, 0x7fffffe
	s_mul_hi_u32 s28, s3, s3
	s_mul_i32 s29, s3, s3
	s_mul_hi_u32 s51, s3, s27
	s_mul_i32 s52, s3, s27
	;; [unrolled: 2-line block ×3, first 2 shown]
	s_mul_i32 s63, s15, s6
	s_and_b32 s40, s66, 0x3ffffff
	s_add_i32 s83, s83, s82
	s_lshr_b64 s[66:67], s[66:67], 26
	s_mul_hi_u32 s8, s0, s27
	s_mul_i32 s17, s0, s27
	s_mul_hi_u32 s20, s0, s25
	s_mul_i32 s22, s0, s25
	;; [unrolled: 2-line block ×5, first 2 shown]
	s_mul_hi_u32 s58, s15, s6
	s_mul_hi_u32 s53, s15, s2
	s_mul_i32 s55, s15, s2
	s_mul_hi_u32 s57, s11, s2
	s_mul_i32 s71, s11, s2
	s_add_u32 s2, s63, s3
	s_mul_i32 s86, s11, s42
	s_addc_u32 s0, s58, s0
	s_mul_hi_u32 s85, s11, s42
	s_add_u32 s2, s2, s86
	s_addc_u32 s0, s0, s85
	s_add_u32 s2, s2, s64
	s_addc_u32 s3, s0, s65
	s_and_b32 s0, s2, 0x3ffffff
	s_lshr_b64 s[64:65], s[2:3], 26
	s_add_u32 s17, s17, s84
	s_addc_u32 s8, s8, s83
	s_add_u32 s17, s17, s68
	s_mul_i32 s3, s0, 0x3d10
	s_addc_u32 s8, s8, s69
	s_mul_hi_u32 s2, s0, 0x3d10
	s_add_u32 s3, s17, s3
	s_addc_u32 s8, s8, s2
	s_add_u32 s2, s3, s66
	s_addc_u32 s3, s8, s67
	s_lshl_b64 s[66:67], s[0:1], 10
	s_and_b32 s0, s4, 0x3ffffff
	s_add_i32 s4, s26, s19
	s_lshr_b64 s[68:69], s[2:3], 26
	s_add_i32 s17, s4, s19
	s_mul_hi_u32 s3, s0, s27
	s_mul_i32 s8, s0, s27
	s_mul_hi_u32 s58, s0, s25
	s_mul_i32 s25, s0, s25
	;; [unrolled: 2-line block ×5, first 2 shown]
	s_add_u32 s0, s55, s29
	s_mul_hi_u32 s70, s11, s6
	s_mul_i32 s6, s11, s6
	s_addc_u32 s4, s53, s28
	s_add_u32 s0, s0, s6
	s_addc_u32 s5, s4, s70
	s_add_u32 s4, s0, s64
	s_addc_u32 s5, s5, s65
	s_mul_hi_u32 s42, s15, s27
	s_mul_i32 s44, s15, s27
	s_and_b32 s0, s4, 0x3ffffff
	s_lshr_b64 s[26:27], s[4:5], 26
	s_add_u32 s6, s22, s18
	s_addc_u32 s17, s20, s17
	s_add_u32 s6, s6, s8
	s_addc_u32 s3, s17, s3
	s_add_u32 s6, s6, s66
	s_mul_i32 s5, s0, 0x3d10
	s_addc_u32 s3, s3, s67
	s_mul_hi_u32 s4, s0, 0x3d10
	s_add_u32 s5, s6, s5
	s_addc_u32 s3, s3, s4
	s_add_u32 s4, s5, s68
	s_addc_u32 s5, s3, s69
	s_lshl_b64 s[18:19], s[0:1], 10
	s_lshl_b32 s0, s10, 1
	s_and_b32 s0, s0, 0x7fffffe
	s_lshr_b64 s[28:29], s[4:5], 26
	s_mul_i32 s5, s0, s15
	s_mul_hi_u32 s3, s0, s15
	s_mul_hi_u32 s8, s11, s0
	s_mul_i32 s10, s11, s0
	s_add_u32 s0, s71, s5
	s_addc_u32 s3, s57, s3
	s_add_u32 s26, s0, s26
	s_addc_u32 s27, s3, s27
	s_and_b32 s0, s26, 0x3ffffff
	s_lshr_b64 s[26:27], s[26:27], 26
	s_add_u32 s6, s25, s41
	s_mul_hi_u32 s34, s15, s15
	s_mul_i32 s35, s15, s15
	s_addc_u32 s15, s58, s23
	s_add_u32 s6, s6, s62
	s_addc_u32 s7, s15, s7
	s_add_u32 s6, s6, s18
	s_mul_i32 s5, s0, 0x3d10
	s_addc_u32 s7, s7, s19
	s_mul_hi_u32 s3, s0, 0x3d10
	s_add_u32 s5, s6, s5
	s_addc_u32 s3, s7, s3
	s_add_u32 s6, s5, s28
	s_addc_u32 s7, s3, s29
	s_lshl_b64 s[18:19], s[0:1], 10
	s_lshr_b64 s[28:29], s[6:7], 26
	s_add_u32 s0, s10, s35
	s_addc_u32 s3, s8, s34
	s_add_u32 s26, s0, s26
	s_addc_u32 s27, s3, s27
	s_and_b32 s0, s26, 0x3ffffff
	s_lshr_b64 s[26:27], s[26:27], 26
	s_add_u32 s7, s72, s49
	s_addc_u32 s8, s63, s47
	s_add_u32 s7, s7, s61
	s_addc_u32 s8, s8, s60
	;; [unrolled: 2-line block ×3, first 2 shown]
	s_add_u32 s7, s7, s18
	s_mul_i32 s5, s0, 0x3d10
	s_addc_u32 s8, s8, s19
	s_mul_hi_u32 s3, s0, 0x3d10
	s_add_u32 s5, s7, s5
	s_addc_u32 s3, s8, s3
	s_add_u32 s8, s5, s28
	s_addc_u32 s9, s3, s29
	s_lshl_b64 s[18:19], s[0:1], 10
	s_lshl_b32 s0, s14, 1
	s_and_b32 s0, s0, 0x7fffffe
	s_lshr_b64 s[14:15], s[8:9], 26
	s_mul_hi_u32 s3, s0, s11
	s_mul_i32 s0, s0, s11
	s_add_u32 s10, s26, s0
	s_mul_hi_u32 s38, s11, s11
	s_mul_i32 s39, s11, s11
	s_addc_u32 s11, s27, s3
	s_and_b32 s0, s10, 0x3ffffff
	s_lshr_b64 s[26:27], s[10:11], 26
	s_add_u32 s7, s37, s21
	s_addc_u32 s9, s36, s73
	s_add_u32 s7, s7, s56
	s_addc_u32 s9, s9, s54
	;; [unrolled: 2-line block ×3, first 2 shown]
	s_add_u32 s7, s7, s18
	s_mul_i32 s5, s0, 0x3d10
	s_addc_u32 s9, s9, s19
	s_mul_hi_u32 s3, s0, 0x3d10
	s_add_u32 s5, s7, s5
	s_addc_u32 s3, s9, s3
	s_add_u32 s10, s5, s14
	s_addc_u32 s11, s3, s15
	s_lshl_b64 s[14:15], s[0:1], 10
	s_lshr_b64 s[18:19], s[10:11], 26
	s_add_u32 s26, s26, s39
	s_addc_u32 s27, s27, s38
	s_and_b32 s0, s26, 0x3ffffff
	s_lshr_b64 s[28:29], s[26:27], 26
	s_add_u32 s7, s50, s75
	s_addc_u32 s17, s48, s74
	s_add_u32 s7, s7, s31
	s_addc_u32 s17, s17, s30
	;; [unrolled: 2-line block ×4, first 2 shown]
	s_add_u32 s7, s7, s14
	s_mul_i32 s5, s0, 0x3d10
	s_addc_u32 s14, s17, s15
	s_mul_hi_u32 s3, s0, 0x3d10
	s_add_u32 s5, s7, s5
	s_addc_u32 s3, s14, s3
	s_add_u32 s14, s5, s18
	s_addc_u32 s15, s3, s19
	s_mul_i32 s11, s28, 0x3d10
	s_lshl_b64 s[18:19], s[0:1], 10
	s_lshr_b64 s[26:27], s[14:15], 26
	s_mul_hi_u32 s9, s28, 0x3d10
	s_add_u32 s0, s11, s43
	s_addc_u32 s3, s9, 0
	s_add_u32 s0, s0, s18
	s_addc_u32 s3, s3, s19
	;; [unrolled: 2-line block ×3, first 2 shown]
	s_lshl_b64 s[18:19], s[28:29], 14
	s_lshr_b64 s[28:29], s[26:27], 22
	s_add_u32 s18, s28, s18
	s_addc_u32 s19, s29, s19
	s_mul_hi_u32 s0, s18, 0x3d1
	s_mul_i32 s5, s19, 0x3d1
	s_mul_i32 s3, s18, 0x3d1
	s_add_i32 s0, s0, s5
	s_add_u32 s24, s3, s24
	s_addc_u32 s25, s0, 0
	s_lshl_b64 s[18:19], s[18:19], 6
	s_lshr_b64 s[28:29], s[24:25], 26
	s_add_u32 s0, s18, s16
	s_addc_u32 s3, s19, 0
	s_add_u32 s16, s0, s28
	s_addc_u32 s17, s3, s29
	s_lshr_b64 s[18:19], s[16:17], 26
	s_add_u32 s7, s18, s40
	s_addc_u32 s9, s19, 0
	s_and_b64 vcc, exec, s[12:13]
	s_mov_b64 s[12:13], 0
	s_cbranch_vccnz .LBB0_27
; %bb.28:
	s_and_b32 s10, s10, 0x3ffffff
	s_and_b32 s12, s14, 0x3ffffff
	s_mul_i32 s13, s10, s93
	s_mul_hi_u32 s14, s10, s92
	v_readlane_b32 s55, v15, 18
	s_and_b32 s11, s26, 0x3fffff
	s_add_i32 s18, s14, s13
	s_and_b32 s14, s4, 0x3ffffff
	v_readlane_b32 s53, v15, 20
	s_and_b32 s15, s2, 0x3ffffff
	v_readlane_b32 s54, v15, 19
	s_mul_i32 s17, s9, s55
	s_mul_hi_u32 s26, s7, s55
	s_and_b32 s8, s8, 0x3ffffff
	s_and_b32 s13, s6, 0x3ffffff
	s_mul_i32 s23, s14, s53
	s_mul_i32 s25, s15, s54
	s_add_i32 s26, s26, s17
	s_and_b32 s16, s16, 0x3ffffff
	s_and_b32 s17, s24, 0x3ffffff
	v_readlane_b32 s52, v15, 21
	s_mul_hi_u32 s4, s14, s53
	s_mul_hi_u32 s2, s15, s54
	s_add_u32 s23, s23, s25
	s_mul_i32 s22, s13, s52
	s_addc_u32 s2, s4, s2
	v_readlane_b32 s51, v15, 22
	s_mul_hi_u32 s6, s13, s52
	s_add_u32 s4, s23, s22
	s_mul_i32 s21, s8, s51
	s_addc_u32 s2, s2, s6
	s_mul_hi_u32 s20, s8, s51
	s_add_u32 s4, s4, s21
	s_mul_i32 s19, s10, s92
	s_addc_u32 s2, s2, s20
	s_add_u32 s4, s4, s19
	s_mul_i32 s5, s12, s89
	s_addc_u32 s2, s2, s18
	s_mul_hi_u32 s3, s12, s89
	s_add_u32 s4, s4, s5
	s_mul_i32 s1, s11, s87
	s_addc_u32 s2, s2, s3
	s_mul_hi_u32 s0, s11, s87
	;; [unrolled: 4-line block ×4, first 2 shown]
	s_add_u32 s1, s1, s29
	s_mul_i32 s27, s7, s55
	s_addc_u32 s0, s0, s28
	s_add_u32 s2, s1, s27
	s_addc_u32 s3, s0, s26
	s_mul_i32 s19, s12, s93
	s_mul_hi_u32 s20, s12, s92
	s_mul_i32 s31, s9, s33
	s_mul_hi_u32 s34, s7, s33
	s_and_b32 s6, s2, 0x3ffffff
	s_lshr_b64 s[2:3], s[2:3], 26
	s_add_i32 s20, s20, s19
	s_mul_i32 s28, s14, s54
	s_mul_i32 s30, s15, s55
	s_add_i32 s34, s34, s31
	s_mul_hi_u32 s27, s14, s54
	s_mul_hi_u32 s29, s15, s55
	s_add_u32 s28, s28, s30
	s_mul_i32 s26, s13, s53
	s_addc_u32 s27, s27, s29
	s_mul_hi_u32 s25, s13, s53
	s_add_u32 s26, s28, s26
	s_mul_i32 s24, s8, s52
	s_addc_u32 s25, s27, s25
	;; [unrolled: 4-line block ×4, first 2 shown]
	s_add_u32 s19, s22, s19
	s_mul_i32 s18, s11, s89
	s_addc_u32 s20, s21, s20
	s_mul_hi_u32 s0, s11, s89
	s_add_u32 s18, s19, s18
	s_mul_i32 s36, s16, s88
	s_addc_u32 s0, s20, s0
	s_mul_hi_u32 s35, s16, s88
	s_add_u32 s18, s18, s36
	s_mul_i32 s31, s7, s33
	s_addc_u32 s0, s0, s35
	s_add_u32 s18, s18, s31
	s_addc_u32 s0, s0, s34
	s_add_u32 s2, s18, s2
	s_addc_u32 s3, s0, s3
	s_and_b32 s0, s2, 0x3ffffff
	s_mul_i32 s4, s17, s87
	s_lshr_b64 s[2:3], s[2:3], 26
	s_mul_i32 s19, s0, 0x3d10
	s_mov_b32 s1, 0
	s_mul_hi_u32 s5, s17, s87
	s_mul_hi_u32 s18, s0, 0x3d10
	s_add_u32 s4, s19, s4
	s_addc_u32 s5, s18, s5
	s_lshl_b64 s[24:25], s[0:1], 10
	s_mul_i32 s0, s11, s93
	s_mul_hi_u32 s23, s11, s92
	s_mul_i32 s40, s9, s88
	s_mul_hi_u32 s41, s7, s88
	s_and_b32 s18, s4, 0x3ffffff
	s_lshr_b64 s[4:5], s[4:5], 26
	s_add_i32 s23, s23, s0
	s_mul_i32 s37, s14, s55
	s_mul_i32 s39, s15, s33
	s_add_i32 s41, s41, s40
	s_mul_hi_u32 s36, s14, s55
	s_mul_hi_u32 s38, s15, s33
	s_add_u32 s37, s37, s39
	s_mul_i32 s35, s13, s54
	s_addc_u32 s36, s36, s38
	s_mul_hi_u32 s34, s13, s54
	s_add_u32 s35, s37, s35
	s_mul_i32 s31, s8, s53
	s_addc_u32 s34, s36, s34
	;; [unrolled: 4-line block ×5, first 2 shown]
	s_add_u32 s0, s27, s0
	s_mul_i32 s40, s7, s88
	s_addc_u32 s23, s26, s23
	s_add_u32 s0, s0, s40
	s_addc_u32 s23, s23, s41
	s_add_u32 s2, s0, s2
	s_addc_u32 s3, s23, s3
	s_mul_i32 s20, s16, s87
	s_mul_i32 s22, s17, s89
	s_and_b32 s0, s2, 0x3ffffff
	s_lshr_b64 s[2:3], s[2:3], 26
	s_mul_hi_u32 s19, s16, s87
	s_mul_hi_u32 s21, s17, s89
	s_add_u32 s20, s20, s22
	s_addc_u32 s19, s19, s21
	s_add_u32 s20, s20, s24
	s_addc_u32 s19, s19, s25
	s_add_u32 s4, s20, s4
	s_mul_i32 s26, s0, 0x3d10
	s_addc_u32 s5, s19, s5
	s_mul_hi_u32 s23, s0, 0x3d10
	s_add_u32 s4, s4, s26
	s_addc_u32 s5, s5, s23
	s_lshl_b64 s[24:25], s[0:1], 10
	s_mul_i32 s0, s9, s87
	s_mul_hi_u32 s20, s7, s87
	s_add_i32 s20, s20, s0
	s_mul_i32 s0, s17, s93
	s_mul_hi_u32 s26, s17, s92
	s_and_b32 s19, s4, 0x3ffffff
	s_lshr_b64 s[4:5], s[4:5], 26
	s_add_i32 s26, s26, s0
	s_mul_i32 s40, s14, s33
	s_mul_i32 s42, s15, s88
	s_mul_hi_u32 s39, s14, s33
	s_mul_hi_u32 s41, s15, s88
	s_add_u32 s40, s40, s42
	s_mul_i32 s38, s13, s55
	s_addc_u32 s39, s39, s41
	s_mul_hi_u32 s37, s13, s55
	s_add_u32 s38, s40, s38
	s_mul_i32 s36, s8, s54
	s_addc_u32 s37, s39, s37
	;; [unrolled: 4-line block ×5, first 2 shown]
	s_mul_hi_u32 s0, s11, s51
	s_add_u32 s28, s30, s28
	s_addc_u32 s0, s29, s0
	s_add_u32 s2, s28, s2
	s_addc_u32 s3, s0, s3
	s_mul_i32 s23, s16, s89
	s_mul_i32 s27, s17, s92
	s_and_b32 s0, s2, 0x3ffffff
	s_lshr_b64 s[2:3], s[2:3], 26
	s_mul_hi_u32 s22, s16, s89
	s_add_u32 s23, s23, s27
	s_mul_i32 s21, s7, s87
	s_addc_u32 s22, s22, s26
	s_add_u32 s21, s23, s21
	s_addc_u32 s20, s22, s20
	s_add_u32 s21, s21, s24
	s_mul_i32 s29, s0, 0x3d10
	s_addc_u32 s20, s20, s25
	s_mul_hi_u32 s28, s0, 0x3d10
	s_add_u32 s21, s21, s29
	s_addc_u32 s20, s20, s28
	s_add_u32 s4, s21, s4
	s_addc_u32 s5, s20, s5
	s_lshl_b64 s[24:25], s[0:1], 10
	s_mul_i32 s0, s9, s89
	s_mul_hi_u32 s23, s7, s89
	s_add_i32 s23, s23, s0
	s_mul_i32 s0, s16, s93
	s_mul_hi_u32 s26, s16, s92
	s_and_b32 s21, s4, 0x3ffffff
	s_lshr_b64 s[4:5], s[4:5], 26
	s_add_i32 s29, s26, s0
	s_mul_i32 s41, s13, s33
	s_mul_i32 s43, s14, s88
	s_mul_hi_u32 s40, s13, s33
	s_mul_hi_u32 s42, s14, s88
	s_add_u32 s41, s41, s43
	s_mul_i32 s39, s8, s55
	s_addc_u32 s40, s40, s42
	s_mul_hi_u32 s38, s8, s55
	s_add_u32 s39, s41, s39
	s_mul_i32 s37, s10, s54
	s_addc_u32 s38, s40, s38
	;; [unrolled: 4-line block ×4, first 2 shown]
	s_mul_hi_u32 s0, s11, s52
	s_add_u32 s26, s35, s26
	s_addc_u32 s0, s27, s0
	s_add_u32 s2, s26, s2
	s_addc_u32 s3, s0, s3
	s_mul_i32 s22, s15, s87
	s_mul_i32 s34, s17, s51
	s_and_b32 s0, s2, 0x3ffffff
	s_lshr_b64 s[26:27], s[2:3], 26
	s_mul_hi_u32 s20, s15, s87
	s_mul_hi_u32 s31, s17, s51
	s_add_u32 s22, s34, s22
	s_mul_i32 s30, s16, s92
	s_addc_u32 s20, s31, s20
	s_add_u32 s22, s22, s30
	s_mul_i32 s28, s7, s89
	s_addc_u32 s20, s20, s29
	s_add_u32 s22, s22, s28
	s_addc_u32 s20, s20, s23
	s_add_u32 s22, s22, s24
	s_mul_i32 s3, s0, 0x3d10
	s_addc_u32 s20, s20, s25
	s_mul_hi_u32 s2, s0, 0x3d10
	s_add_u32 s3, s22, s3
	s_addc_u32 s20, s20, s2
	s_add_u32 s2, s3, s4
	s_addc_u32 s3, s20, s5
	s_lshl_b64 s[24:25], s[0:1], 10
	s_mul_i32 s0, s7, s93
	s_mul_hi_u32 s28, s7, s92
	s_add_i32 s0, s28, s0
	s_mul_i32 s28, s9, s92
	s_lshr_b64 s[4:5], s[2:3], 26
	s_add_i32 s28, s0, s28
	s_mul_i32 s42, s8, s33
	s_mul_i32 s44, s13, s88
	s_mul_hi_u32 s41, s8, s33
	s_mul_hi_u32 s43, s13, s88
	s_add_u32 s42, s42, s44
	s_mul_i32 s40, s10, s55
	s_addc_u32 s41, s41, s43
	s_mul_hi_u32 s39, s10, s55
	s_add_u32 s40, s42, s40
	s_mul_i32 s38, s12, s54
	s_addc_u32 s39, s41, s39
	;; [unrolled: 4-line block ×3, first 2 shown]
	s_mul_hi_u32 s0, s11, s53
	s_add_u32 s36, s38, s36
	s_addc_u32 s0, s37, s0
	s_add_u32 s26, s36, s26
	s_addc_u32 s27, s0, s27
	s_mul_i32 s20, s14, s87
	s_mul_i32 s23, s15, s89
	s_and_b32 s0, s26, 0x3ffffff
	s_lshr_b64 s[26:27], s[26:27], 26
	s_mul_hi_u32 s3, s14, s87
	s_mul_hi_u32 s22, s15, s89
	s_add_u32 s20, s20, s23
	s_mul_i32 s35, s17, s52
	s_addc_u32 s3, s3, s22
	s_mul_hi_u32 s34, s17, s52
	s_add_u32 s20, s20, s35
	s_mul_i32 s31, s16, s51
	s_addc_u32 s3, s3, s34
	;; [unrolled: 4-line block ×3, first 2 shown]
	s_add_u32 s20, s20, s29
	s_addc_u32 s3, s3, s28
	s_add_u32 s20, s20, s24
	s_mul_i32 s37, s0, 0x3d10
	s_addc_u32 s22, s3, s25
	s_mul_hi_u32 s36, s0, 0x3d10
	s_add_u32 s3, s20, s37
	s_addc_u32 s24, s22, s36
	s_lshl_b64 s[28:29], s[0:1], 10
	s_mul_i32 s0, s15, s93
	s_mul_hi_u32 s30, s15, s92
	s_add_i32 s30, s30, s0
	s_mul_i32 s0, s9, s51
	s_mul_hi_u32 s34, s7, s51
	s_add_i32 s34, s34, s0
	s_mul_i32 s44, s10, s33
	s_mul_i32 s46, s8, s88
	s_mul_hi_u32 s43, s10, s33
	s_mul_hi_u32 s45, s8, s88
	s_add_u32 s44, s44, s46
	s_mul_i32 s42, s12, s55
	s_addc_u32 s43, s43, s45
	s_mul_hi_u32 s41, s12, s55
	s_add_u32 s42, s44, s42
	s_mul_i32 s40, s11, s54
	s_addc_u32 s41, s43, s41
	s_mul_hi_u32 s0, s11, s54
	s_add_u32 s40, s42, s40
	s_addc_u32 s0, s41, s0
	s_add_u32 s26, s40, s26
	s_addc_u32 s27, s0, s27
	s_mul_i32 s25, s14, s89
	s_mul_i32 s31, s15, s92
	s_and_b32 s0, s26, 0x3ffffff
	s_lshr_b64 s[26:27], s[26:27], 26
	s_mul_hi_u32 s23, s14, s89
	s_add_u32 s25, s25, s31
	s_mul_i32 s22, s13, s87
	s_addc_u32 s23, s23, s30
	s_mul_hi_u32 s20, s13, s87
	s_add_u32 s22, s25, s22
	s_mul_i32 s39, s17, s53
	s_addc_u32 s20, s23, s20
	;; [unrolled: 4-line block ×4, first 2 shown]
	s_add_u32 s22, s22, s35
	s_addc_u32 s20, s20, s34
	s_add_u32 s22, s22, s28
	s_mul_i32 s41, s0, 0x3d10
	s_addc_u32 s20, s20, s29
	s_mul_hi_u32 s40, s0, 0x3d10
	s_add_u32 s22, s22, s41
	s_addc_u32 s20, s20, s40
	s_lshl_b64 s[28:29], s[0:1], 10
	s_mul_i32 s0, s14, s93
	s_mul_hi_u32 s34, s14, s92
	s_add_i32 s34, s34, s0
	s_mul_i32 s0, s9, s52
	s_mul_hi_u32 s38, s7, s52
	s_add_i32 s38, s38, s0
	s_mul_i32 s46, s12, s33
	s_mul_i32 s48, s10, s88
	s_mul_hi_u32 s45, s12, s33
	s_mul_hi_u32 s47, s10, s88
	s_add_u32 s46, s46, s48
	s_mul_i32 s44, s11, s55
	s_addc_u32 s45, s45, s47
	s_mul_hi_u32 s0, s11, s55
	s_add_u32 s44, s46, s44
	s_addc_u32 s0, s45, s0
	s_add_u32 s26, s44, s26
	s_addc_u32 s27, s0, s27
	s_mul_i32 s35, s14, s92
	s_mul_i32 s37, s15, s51
	s_and_b32 s0, s26, 0x3ffffff
	s_lshr_b64 s[26:27], s[26:27], 26
	s_mul_hi_u32 s36, s15, s51
	s_add_u32 s35, s35, s37
	s_mul_i32 s31, s13, s89
	s_addc_u32 s34, s34, s36
	s_mul_hi_u32 s30, s13, s89
	s_add_u32 s31, s35, s31
	s_mul_i32 s25, s8, s87
	s_addc_u32 s30, s34, s30
	;; [unrolled: 4-line block ×5, first 2 shown]
	s_add_u32 s25, s25, s39
	s_addc_u32 s23, s23, s38
	s_add_u32 s25, s25, s28
	s_mul_i32 s45, s0, 0x3d10
	s_addc_u32 s23, s23, s29
	s_mul_hi_u32 s44, s0, 0x3d10
	s_add_u32 s25, s25, s45
	s_addc_u32 s23, s23, s44
	s_lshl_b64 s[28:29], s[0:1], 10
	s_mul_i32 s0, s13, s93
	s_mul_hi_u32 s36, s13, s92
	s_add_i32 s36, s36, s0
	s_mul_i32 s0, s9, s53
	s_mul_hi_u32 s42, s7, s53
	s_add_i32 s42, s42, s0
	s_mul_i32 s48, s11, s33
	s_mul_i32 s50, s12, s88
	s_mul_hi_u32 s0, s11, s33
	s_mul_hi_u32 s49, s12, s88
	s_add_u32 s48, s48, s50
	s_addc_u32 s0, s0, s49
	s_add_u32 s26, s48, s26
	s_addc_u32 s27, s0, s27
	s_mul_i32 s39, s14, s51
	s_mul_i32 s41, s15, s52
	s_and_b32 s0, s26, 0x3ffffff
	s_lshr_b64 s[26:27], s[26:27], 26
	s_mul_hi_u32 s38, s14, s51
	s_mul_hi_u32 s40, s15, s52
	s_add_u32 s39, s39, s41
	s_mul_i32 s37, s13, s92
	s_addc_u32 s38, s38, s40
	s_add_u32 s37, s39, s37
	s_mul_i32 s35, s8, s89
	s_addc_u32 s36, s38, s36
	s_mul_hi_u32 s34, s8, s89
	s_add_u32 s35, s37, s35
	s_mul_i32 s31, s10, s87
	s_addc_u32 s34, s36, s34
	s_mul_hi_u32 s30, s10, s87
	s_add_u32 s31, s35, s31
	s_mul_i32 s47, s17, s55
	s_addc_u32 s30, s34, s30
	s_mul_hi_u32 s46, s17, s55
	s_add_u32 s31, s31, s47
	s_mul_i32 s45, s16, s54
	s_addc_u32 s30, s30, s46
	s_mul_hi_u32 s44, s16, s54
	s_add_u32 s31, s31, s45
	s_mul_i32 s43, s7, s53
	s_addc_u32 s30, s30, s44
	s_add_u32 s31, s31, s43
	s_addc_u32 s30, s30, s42
	s_add_u32 s28, s31, s28
	s_mul_i32 s49, s0, 0x3d10
	s_addc_u32 s29, s30, s29
	s_mul_hi_u32 s48, s0, 0x3d10
	s_add_u32 s30, s28, s49
	s_addc_u32 s31, s29, s48
	s_lshl_b64 s[28:29], s[0:1], 10
	s_mul_i32 s0, s8, s93
	s_mul_hi_u32 s36, s8, s92
	s_add_i32 s36, s36, s0
	s_mul_i32 s37, s8, s92
	s_mul_i32 s0, s9, s54
	s_mul_hi_u32 s8, s7, s54
	s_add_i32 s41, s8, s0
	s_mul_hi_u32 s0, s11, s88
	s_mul_i32 s11, s11, s88
	s_add_u32 s8, s26, s11
	s_addc_u32 s9, s27, s0
	s_mul_hi_u32 s39, s14, s52
	s_mul_i32 s14, s14, s52
	s_mul_hi_u32 s40, s15, s53
	s_mul_i32 s15, s15, s53
	s_and_b32 s0, s8, 0x3ffffff
	s_lshr_b64 s[8:9], s[8:9], 26
	s_add_u32 s14, s14, s15
	s_mul_hi_u32 s38, s13, s51
	s_mul_i32 s13, s13, s51
	s_addc_u32 s15, s39, s40
	s_add_u32 s13, s14, s13
	s_addc_u32 s14, s15, s38
	s_add_u32 s13, s13, s37
	s_mul_hi_u32 s35, s10, s89
	s_mul_i32 s10, s10, s89
	s_addc_u32 s14, s14, s36
	s_add_u32 s10, s13, s10
	s_mul_hi_u32 s34, s12, s87
	s_mul_i32 s12, s12, s87
	;; [unrolled: 4-line block ×4, first 2 shown]
	s_addc_u32 s12, s12, s43
	s_add_u32 s10, s10, s16
	s_mul_i32 s7, s7, s54
	s_addc_u32 s12, s12, s42
	s_add_u32 s7, s10, s7
	s_addc_u32 s10, s12, s41
	s_add_u32 s7, s7, s28
	s_mul_i32 s26, s0, 0x3d10
	s_addc_u32 s10, s10, s29
	s_mul_hi_u32 s11, s0, 0x3d10
	s_add_u32 s14, s7, s26
	s_addc_u32 s15, s10, s11
	s_lshl_b64 s[0:1], s[0:1], 10
	s_mul_i32 s10, s8, 0x3d10
	s_mul_hi_u32 s7, s8, 0x3d10
	s_add_u32 s6, s10, s6
	s_addc_u32 s7, s7, 0
	s_add_u32 s16, s6, s0
	s_addc_u32 s17, s7, s1
	s_lshl_b64 s[6:7], s[8:9], 14
	s_add_u32 s0, s3, s4
	s_addc_u32 s1, s24, s5
	s_lshr_b64 s[4:5], s[0:1], 26
	s_add_u32 s8, s22, s4
	s_addc_u32 s9, s20, s5
	s_lshr_b64 s[4:5], s[8:9], 26
	s_add_u32 s10, s25, s4
	s_addc_u32 s11, s23, s5
	s_and_b32 s1, s10, 0x3f00000
	s_lshr_b64 s[4:5], s[10:11], 26
	s_add_u32 s12, s30, s4
	s_addc_u32 s13, s31, s5
	s_lshr_b64 s[4:5], s[12:13], 26
	s_add_u32 s14, s14, s4
	s_addc_u32 s15, s15, s5
	;; [unrolled: 3-line block ×4, first 2 shown]
	s_mul_i32 s3, s7, 0x3d1
	s_mul_hi_u32 s4, s6, 0x3d1
	s_add_i32 s3, s4, s3
	s_mul_i32 s4, s6, 0x3d1
	s_add_u32 s4, s4, s18
	s_addc_u32 s5, s3, 0
	s_lshr_b64 s[22:23], s[4:5], 26
	s_lshl_b64 s[6:7], s[6:7], 6
	s_add_u32 s3, s6, s19
	s_addc_u32 s5, s7, 0
	s_add_u32 s6, s3, s22
	s_addc_u32 s7, s5, s23
	s_lshr_b64 s[18:19], s[6:7], 26
	s_add_i32 s5, s18, s21
	s_lshr_b64 s[18:19], s[14:15], 16
	s_lshl_b32 s13, s10, 4
	s_bfe_u32 s15, s8, 0x40016
	s_or_b32 s15, s13, s15
	s_and_b32 s13, s13, 0xff00
	s_bfe_u32 s10, s10, 0x8000c
	s_or_b32 s10, s10, s13
	s_lshr_b32 s1, s1, 12
	s_lshl_b32 s13, s12, 14
	s_or_b32 s1, s13, s1
	s_bfe_u32 s13, s12, 0x80002
	s_or_b32 s1, s13, s1
	s_lshr_b32 s11, s12, 2
	s_lshr_b32 s20, s0, 16
	s_lshl_b32 s10, s10, 16
	s_and_b32 s1, s1, 0xffff
	s_and_b32 s20, s20, 0x300
	s_lshl_b32 s21, s8, 10
	s_or_b32 s1, s1, s10
	s_and_b32 s10, s11, 0xff00
	s_bfe_u32 s11, s12, 0x80012
	s_lshr_b32 s17, s8, 6
	s_bfe_u32 s19, s14, 0x80008
	s_or_b32 s20, s21, s20
	s_bfe_u32 s8, s8, 0x80006
	s_or_b32 s10, s11, s10
	s_lshl_b32 s11, s14, 8
	s_lshl_b32 s7, s16, 2
	s_bfe_u32 s9, s14, 0x20018
	s_or_b32 s8, s8, s20
	s_and_b32 s15, s15, 0xff
	s_and_b32 s17, s17, 0xff00
	s_or_b32 s11, s19, s11
	s_or_b32 s9, s7, s9
	s_lshl_b32 s8, s8, 16
	s_or_b32 s15, s15, s17
	s_lshl_b32 s10, s10, 16
	s_and_b32 s11, s11, 0xffff
	v_mov_b32_e32 v1, s18
	v_mov_b32_e32 v2, 0xc0c0004
	s_or_b32 s8, s15, s8
	s_or_b32 s10, s11, s10
	s_and_b32 s7, s7, 0xff00
	s_bfe_u32 s11, s16, 0x8000e
	v_perm_b32 v1, s9, v1, v2
	s_or_b32 s7, s11, s7
	v_lshlrev_b32_e32 v1, 16, v1
	v_mov_b32_e32 v3, s1
	v_mov_b32_e32 v4, s8
	s_lshl_b32 s1, s2, 6
	s_and_b32 s8, s0, 0xff
	v_or_b32_e32 v1, s7, v1
	s_and_b32 s7, s1, 0xff000000
	s_lshl_b32 s8, s8, 16
	v_mov_b32_e32 v2, s10
	s_or_b32 s7, s7, s8
	s_and_b32 s8, s0, 0xffffff00
	s_bfe_u32 s0, s0, 0x80010
	s_lshl_b32 s9, s6, 2
	s_bfe_u32 s10, s4, 0x20018
	s_and_b32 s3, s6, 0x3c00000
	s_or_b32 s0, s0, s8
	s_or_b32 s10, s9, s10
	s_and_b32 s9, s9, 0xff00
	s_bfe_u32 s6, s6, 0x8000e
	s_and_b32 s0, s0, 0xffff
	s_or_b32 s6, s6, s9
	s_lshr_b32 s3, s3, 14
	s_lshl_b32 s9, s5, 12
	v_mov_b32_e32 v0, 0
	s_or_b32 s0, s0, s7
	s_bfe_u32 s7, s5, 0x60014
	s_lshr_b32 s8, s5, 4
	s_or_b32 s3, s9, s3
	s_bfe_u32 s5, s5, 0x80004
	global_store_dwordx4 v0, v[1:4], s[90:91]
	s_or_b32 s3, s5, s3
	v_mov_b32_e32 v1, s4
	s_lshl_b32 s5, s4, 24
	s_lshl_b32 s4, s4, 8
	v_mov_b32_e32 v2, 0xc0c0204
	s_and_b32 s4, s4, 0xff0000
	s_or_b32 s7, s7, s1
	v_perm_b32 v1, s10, v1, v2
	s_or_b32 s4, s5, s4
	v_or_b32_e32 v4, s4, v1
	s_and_b32 s4, s8, 0xff00
	s_and_b32 s5, s7, 0xff
	s_or_b32 s4, s5, s4
	s_and_b32 s1, s1, 0xff00
	s_bfe_u32 s2, s2, 0x8000a
	s_lshl_b32 s6, s6, 16
	s_and_b32 s3, s3, 0xffff
	s_lshl_b32 s4, s4, 16
	s_or_b32 s1, s2, s1
	s_or_b32 s3, s3, s6
	;; [unrolled: 1-line block ×3, first 2 shown]
	v_mov_b32_e32 v1, s0
	v_mov_b32_e32 v2, s1
	;; [unrolled: 1-line block ×3, first 2 shown]
	global_store_dwordx4 v0, v[1:4], s[90:91] offset:16
	s_endpgm
	.section	.rodata,"a",@progbits
	.p2align	6, 0x0
	.amdhsa_kernel _Z9secp256k1PK20secp256k1_ge_storagePh
		.amdhsa_group_segment_fixed_size 0
		.amdhsa_private_segment_fixed_size 0
		.amdhsa_kernarg_size 16
		.amdhsa_user_sgpr_count 6
		.amdhsa_user_sgpr_private_segment_buffer 1
		.amdhsa_user_sgpr_dispatch_ptr 0
		.amdhsa_user_sgpr_queue_ptr 0
		.amdhsa_user_sgpr_kernarg_segment_ptr 1
		.amdhsa_user_sgpr_dispatch_id 0
		.amdhsa_user_sgpr_flat_scratch_init 0
		.amdhsa_user_sgpr_private_segment_size 0
		.amdhsa_uses_dynamic_stack 0
		.amdhsa_system_sgpr_private_segment_wavefront_offset 0
		.amdhsa_system_sgpr_workgroup_id_x 1
		.amdhsa_system_sgpr_workgroup_id_y 0
		.amdhsa_system_sgpr_workgroup_id_z 0
		.amdhsa_system_sgpr_workgroup_info 0
		.amdhsa_system_vgpr_workitem_id 0
		.amdhsa_next_free_vgpr 16
		.amdhsa_next_free_sgpr 96
		.amdhsa_reserve_vcc 1
		.amdhsa_reserve_flat_scratch 0
		.amdhsa_float_round_mode_32 0
		.amdhsa_float_round_mode_16_64 0
		.amdhsa_float_denorm_mode_32 3
		.amdhsa_float_denorm_mode_16_64 3
		.amdhsa_dx10_clamp 1
		.amdhsa_ieee_mode 1
		.amdhsa_fp16_overflow 0
		.amdhsa_exception_fp_ieee_invalid_op 0
		.amdhsa_exception_fp_denorm_src 0
		.amdhsa_exception_fp_ieee_div_zero 0
		.amdhsa_exception_fp_ieee_overflow 0
		.amdhsa_exception_fp_ieee_underflow 0
		.amdhsa_exception_fp_ieee_inexact 0
		.amdhsa_exception_int_div_zero 0
	.end_amdhsa_kernel
	.text
.Lfunc_end0:
	.size	_Z9secp256k1PK20secp256k1_ge_storagePh, .Lfunc_end0-_Z9secp256k1PK20secp256k1_ge_storagePh
                                        ; -- End function
	.set _Z9secp256k1PK20secp256k1_ge_storagePh.num_vgpr, 16
	.set _Z9secp256k1PK20secp256k1_ge_storagePh.num_agpr, 0
	.set _Z9secp256k1PK20secp256k1_ge_storagePh.numbered_sgpr, 96
	.set _Z9secp256k1PK20secp256k1_ge_storagePh.num_named_barrier, 0
	.set _Z9secp256k1PK20secp256k1_ge_storagePh.private_seg_size, 0
	.set _Z9secp256k1PK20secp256k1_ge_storagePh.uses_vcc, 1
	.set _Z9secp256k1PK20secp256k1_ge_storagePh.uses_flat_scratch, 0
	.set _Z9secp256k1PK20secp256k1_ge_storagePh.has_dyn_sized_stack, 0
	.set _Z9secp256k1PK20secp256k1_ge_storagePh.has_recursion, 0
	.set _Z9secp256k1PK20secp256k1_ge_storagePh.has_indirect_call, 0
	.section	.AMDGPU.csdata,"",@progbits
; Kernel info:
; codeLenInByte = 93484
; TotalNumSgprs: 100
; NumVgprs: 16
; ScratchSize: 0
; MemoryBound: 0
; FloatMode: 240
; IeeeMode: 1
; LDSByteSize: 0 bytes/workgroup (compile time only)
; SGPRBlocks: 12
; VGPRBlocks: 3
; NumSGPRsForWavesPerEU: 100
; NumVGPRsForWavesPerEU: 16
; Occupancy: 8
; WaveLimiterHint : 0
; COMPUTE_PGM_RSRC2:SCRATCH_EN: 0
; COMPUTE_PGM_RSRC2:USER_SGPR: 6
; COMPUTE_PGM_RSRC2:TRAP_HANDLER: 0
; COMPUTE_PGM_RSRC2:TGID_X_EN: 1
; COMPUTE_PGM_RSRC2:TGID_Y_EN: 0
; COMPUTE_PGM_RSRC2:TGID_Z_EN: 0
; COMPUTE_PGM_RSRC2:TIDIG_COMP_CNT: 0
	.section	.AMDGPU.gpr_maximums,"",@progbits
	.set amdgpu.max_num_vgpr, 0
	.set amdgpu.max_num_agpr, 0
	.set amdgpu.max_num_sgpr, 0
	.section	.AMDGPU.csdata,"",@progbits
	.type	__hip_cuid_126fc09dd5d24f06,@object ; @__hip_cuid_126fc09dd5d24f06
	.section	.bss,"aw",@nobits
	.globl	__hip_cuid_126fc09dd5d24f06
__hip_cuid_126fc09dd5d24f06:
	.byte	0                               ; 0x0
	.size	__hip_cuid_126fc09dd5d24f06, 1

	.ident	"AMD clang version 22.0.0git (https://github.com/RadeonOpenCompute/llvm-project roc-7.2.4 26084 f58b06dce1f9c15707c5f808fd002e18c2accf7e)"
	.section	".note.GNU-stack","",@progbits
	.addrsig
	.addrsig_sym __hip_cuid_126fc09dd5d24f06
	.amdgpu_metadata
---
amdhsa.kernels:
  - .args:
      - .address_space:  global
        .offset:         0
        .size:           8
        .value_kind:     global_buffer
      - .address_space:  global
        .offset:         8
        .size:           8
        .value_kind:     global_buffer
    .group_segment_fixed_size: 0
    .kernarg_segment_align: 8
    .kernarg_segment_size: 16
    .language:       OpenCL C
    .language_version:
      - 2
      - 0
    .max_flat_workgroup_size: 1024
    .name:           _Z9secp256k1PK20secp256k1_ge_storagePh
    .private_segment_fixed_size: 0
    .sgpr_count:     100
    .sgpr_spill_count: 103
    .symbol:         _Z9secp256k1PK20secp256k1_ge_storagePh.kd
    .uniform_work_group_size: 1
    .uses_dynamic_stack: false
    .vgpr_count:     16
    .vgpr_spill_count: 0
    .wavefront_size: 64
amdhsa.target:   amdgcn-amd-amdhsa--gfx906
amdhsa.version:
  - 1
  - 2
...

	.end_amdgpu_metadata
